;; amdgpu-corpus repo=ROCm/aiter kind=harvested arch=n/a opt=n/a

/root/src/amdgpu-assembly/repos/ROCm__aiter/hsa/gfx942/fmoe/silu/fmoe_fp16_pertokenFp8_g1u1_multix_silu_1tg_ps_32x192.co:	file format elf64-amdgpu

Disassembly of section .text:

0000000000002e00 <_ZN5aiter52fmoe_fp16_pertokenFp8_g1u1_multix_silu_1tg_ps_32x192E>:
	v_lshrrev_b32_e32 v1, 10, v0                               // 000000002E00: 2002008A
	v_lshrrev_b32_e32 v2, 10, v1                               // 000000002E04: 2004028A
	v_and_b32_e32 v2, 0x3ff, v2                                // 000000002E08: 260404FF 000003FF
	v_and_b32_e32 v1, 0x3ff, v1                                // 000000002E10: 260202FF 000003FF
	v_and_b32_e32 v0, 0x3ff, v0                                // 000000002E18: 260000FF 000003FF
	v_lshrrev_b32_e32 v3, 6, v0                                // 000000002E20: 20060086
	v_and_b32_e32 v0, 63, v0                                   // 000000002E24: 260000BF
	s_mov_b32 s2, s2                                           // 000000002E28: BE820002
	s_mov_b32 s3, s3                                           // 000000002E2C: BE830003
	s_mov_b32 s4, s4                                           // 000000002E30: BE840004
	s_mov_b32 s99, s2                                          // 000000002E34: BEE30002
	v_readfirstlane_b32 s7, v3                                 // 000000002E38: 7E0E0503
	s_and_b32 s1, s1, 0xffff                                   // 000000002E3C: 8601FF01 0000FFFF
	s_mov_b32 s96, 0                                           // 000000002E44: BEE00080
	s_mov_b32 s97, 0                                           // 000000002E48: BEE10080
	s_mov_b32 s100, 0                                          // 000000002E4C: BEE40080
	s_load_dword s96, s[0:1], 0x1a0                            // 000000002E50: C0021800 000001A0
	s_load_dword s97, s[0:1], 0x1b0                            // 000000002E58: C0021840 000001B0
	s_waitcnt lgkmcnt(0)                                       // 000000002E60: BF8CC07F
	s_cmp_eq_u32 s96, 0                                        // 000000002E64: BF068060
	s_cbranch_scc1 label_005C                                  // 000000002E68: BF850041
	v_cvt_f32_u32_e32 v44, s97                                 // 000000002E6C: 7E580C61
	s_sub_i32 s60, 0, s97                                      // 000000002E70: 81BC6180
	v_rcp_iflag_f32_e32 v44, v44                               // 000000002E74: 7E58472C
	s_nop 0                                                    // 000000002E78: BF800000
	v_mul_f32_e32 v44, 0x4f7ffffe, v44                         // 000000002E7C: 0A5858FF 4F7FFFFE
	v_cvt_u32_f32_e32 v44, v44                                 // 000000002E84: 7E580F2C
	v_mul_lo_u32 v45, s60, v44                                 // 000000002E88: D285002D 0002583C
	v_mul_hi_u32 v45, v44, v45                                 // 000000002E90: D286002D 00025B2C
	v_add_u32_e32 v44, v44, v45                                // 000000002E98: 68585B2C
	v_mul_hi_u32 v44, s96, v44                                 // 000000002E9C: D286002C 00025860
	v_mul_lo_u32 v45, v44, s97                                 // 000000002EA4: D285002D 0000C32C
	v_sub_u32_e32 v47, s96, v45                                // 000000002EAC: 6A5E5A60
	v_add_u32_e32 v46, 1, v44                                  // 000000002EB0: 685C5881
	v_cmp_le_u32_e32 vcc, s97, v47                             // 000000002EB4: 7D965E61
	v_subrev_u32_e32 v45, s97, v47                             // 000000002EB8: 6C5A5E61
	s_nop 0                                                    // 000000002EBC: BF800000
	v_cndmask_b32_e32 v44, v44, v46, vcc                       // 000000002EC0: 00585D2C
	v_cndmask_b32_e32 v47, v47, v45, vcc                       // 000000002EC4: 005E5B2F
	v_add_u32_e32 v45, 1, v44                                  // 000000002EC8: 685A5881
	v_cmp_le_u32_e32 vcc, s97, v47                             // 000000002ECC: 7D965E61
	s_nop 1                                                    // 000000002ED0: BF800001
	v_cndmask_b32_e32 v47, v44, v45, vcc                       // 000000002ED4: 005E5B2C
	s_nop 3                                                    // 000000002ED8: BF800003
	v_readfirstlane_b32 s98, v47                               // 000000002EDC: 7EC4052F
	s_nop 3                                                    // 000000002EE0: BF800003

0000000000002ee4 <label_0039>:
	s_mov_b32 s4, 0                                            // 000000002EE4: BE840080
	v_cvt_f32_u32_e32 v44, s97                                 // 000000002EE8: 7E580C61
	s_sub_i32 s60, 0, s97                                      // 000000002EEC: 81BC6180
	v_rcp_iflag_f32_e32 v44, v44                               // 000000002EF0: 7E58472C
	s_nop 0                                                    // 000000002EF4: BF800000
	v_mul_f32_e32 v44, 0x4f7ffffe, v44                         // 000000002EF8: 0A5858FF 4F7FFFFE
	v_cvt_u32_f32_e32 v44, v44                                 // 000000002F00: 7E580F2C
	v_mul_lo_u32 v45, s60, v44                                 // 000000002F04: D285002D 0002583C
	v_mul_hi_u32 v45, v44, v45                                 // 000000002F0C: D286002D 00025B2C
	v_add_u32_e32 v44, v44, v45                                // 000000002F14: 68585B2C
	v_mul_hi_u32 v44, s99, v44                                 // 000000002F18: D286002C 00025863
	v_mul_lo_u32 v45, v44, s97                                 // 000000002F20: D285002D 0000C32C
	v_sub_u32_e32 v47, s99, v45                                // 000000002F28: 6A5E5A63
	v_add_u32_e32 v46, 1, v44                                  // 000000002F2C: 685C5881
	v_cmp_le_u32_e32 vcc, s97, v47                             // 000000002F30: 7D965E61
	v_subrev_u32_e32 v45, s97, v47                             // 000000002F34: 6C5A5E61
	s_nop 0                                                    // 000000002F38: BF800000
	v_cndmask_b32_e32 v44, v44, v46, vcc                       // 000000002F3C: 00585D2C
	v_cndmask_b32_e32 v47, v47, v45, vcc                       // 000000002F40: 005E5B2F
	v_add_u32_e32 v45, 1, v44                                  // 000000002F44: 685A5881
	v_cmp_le_u32_e32 vcc, s97, v47                             // 000000002F48: 7D965E61
	s_nop 1                                                    // 000000002F4C: BF800001
	v_cndmask_b32_e32 v47, v44, v45, vcc                       // 000000002F50: 005E5B2C
	s_nop 3                                                    // 000000002F54: BF800003
	v_readfirstlane_b32 s3, v47                                // 000000002F58: 7E06052F
	s_nop 3                                                    // 000000002F5C: BF800003
	s_mul_i32 s60, s3, s97                                     // 000000002F60: 923C6103
	s_sub_u32 s2, s99, s60                                     // 000000002F64: 80823C63
	s_mul_i32 s60, s98, s100                                   // 000000002F68: 923C6462
	s_add_i32 s3, s3, s60                                      // 000000002F6C: 81033C03

0000000000002f70 <label_005C>:
	s_and_b32 s1, s1, 0xffff                                   // 000000002F70: 8601FF01 0000FFFF
	s_load_dwordx2 s[8:9], s[0:1], 0x0                         // 000000002F78: C0060200 00000000
	s_load_dwordx2 s[20:21], s[0:1], 0x10                      // 000000002F80: C0060500 00000010
	s_load_dwordx2 s[24:25], s[0:1], 0x20                      // 000000002F88: C0060600 00000020
	s_load_dwordx2 s[50:51], s[0:1], 0x30                      // 000000002F90: C0060C80 00000030
	s_load_dwordx2 s[12:13], s[0:1], 0x40                      // 000000002F98: C0060300 00000040
	s_load_dwordx2 s[28:29], s[0:1], 0x50                      // 000000002FA0: C0060700 00000050
	s_load_dwordx2 s[32:33], s[0:1], 0x60                      // 000000002FA8: C0060800 00000060
	s_load_dwordx2 s[16:17], s[0:1], 0x70                      // 000000002FB0: C0060400 00000070
	s_load_dwordx2 s[36:37], s[0:1], 0x80                      // 000000002FB8: C0060900 00000080
	s_load_dwordx2 s[44:45], s[0:1], 0x90                      // 000000002FC0: C0060B00 00000090
	s_load_dwordx2 s[40:41], s[0:1], 0xa0                      // 000000002FC8: C0060A00 000000A0
	s_load_dwordx2 s[46:47], s[0:1], 0xb0                      // 000000002FD0: C0060B80 000000B0
	s_load_dword s64, s[0:1], 0xc0                             // 000000002FD8: C0021000 000000C0
	s_load_dword s65, s[0:1], 0xd0                             // 000000002FE0: C0021040 000000D0
	s_load_dword s67, s[0:1], 0xf0                             // 000000002FE8: C00210C0 000000F0
	s_load_dword s68, s[0:1], 0x100                            // 000000002FF0: C0021100 00000100
	s_load_dword s69, s[0:1], 0x110                            // 000000002FF8: C0021140 00000110
	s_load_dword s70, s[0:1], 0x120                            // 000000003000: C0021180 00000120
	s_load_dword s71, s[0:1], 0x130                            // 000000003008: C00211C0 00000130
	s_load_dword s72, s[0:1], 0x140                            // 000000003010: C0021200 00000140
	s_load_dword s73, s[0:1], 0x150                            // 000000003018: C0021240 00000150
	s_load_dword s74, s[0:1], 0x160                            // 000000003020: C0021280 00000160
	s_load_dword s75, s[0:1], 0x170                            // 000000003028: C00212C0 00000170
	s_load_dword s76, s[0:1], 0x180                            // 000000003030: C0021300 00000180
	s_load_dword s63, s[0:1], 0x190                            // 000000003038: C0020FC0 00000190
	s_mov_b32 s2, s2                                           // 000000003040: BE820002
	s_mov_b32 s3, s3                                           // 000000003044: BE830003
	s_mov_b32 s4, s4                                           // 000000003048: BE840004
	s_waitcnt lgkmcnt(0)                                       // 00000000304C: BF8CC07F
	s_and_b32 s51, s51, 0xffff                                 // 000000003050: 8633FF33 0000FFFF
	s_load_dword s66, s[50:51], 0x4                            // 000000003058: C0021099 00000004
	s_load_dword s50, s[50:51], 0x0                            // 000000003060: C0020C99 00000000
	s_waitcnt lgkmcnt(0)                                       // 000000003068: BF8CC07F
	s_and_b32 s45, s45, 0xffff                                 // 00000000306C: 862DFF2D 0000FFFF
	s_and_b32 s47, s47, 0xffff                                 // 000000003074: 862FFF2F 0000FFFF
	s_and_b32 s9, s9, 0xffff                                   // 00000000307C: 8609FF09 0000FFFF
	s_mul_i32 s60, s66, s68                                    // 000000003084: 923C4442
	s_mul_i32 s60, s63, s60                                    // 000000003088: 923C3C3F
	s_mul_i32 s61, s66, 4                                      // 00000000308C: 923D8442
	s_mul_i32 s61, s63, s61                                    // 000000003090: 923D3D3F
	s_mov_b32 s22, s60                                         // 000000003094: BE96003C
	s_mov_b32 s26, -16                                         // 000000003098: BE9A00D0
	s_mov_b32 s14, -16                                         // 00000000309C: BE8E00D0
	s_mov_b32 s42, -16                                         // 0000000030A0: BEAA00D0
	s_mov_b32 s30, s61                                         // 0000000030A4: BE9E003D
	s_mov_b32 s34, 0x300                                       // 0000000030A8: BEA200FF 00000300
	s_mov_b32 s38, 0x300                                       // 0000000030B0: BEA600FF 00000300
	s_mov_b32 s18, -16                                         // 0000000030B8: BE9200D0
	s_mov_b32 s23, 0x20000                                     // 0000000030BC: BE9700FF 00020000
	s_mov_b32 s27, 0x20000                                     // 0000000030C4: BE9B00FF 00020000
	s_mov_b32 s15, 0x20000                                     // 0000000030CC: BE8F00FF 00020000
	s_mov_b32 s43, 0x20000                                     // 0000000030D4: BEAB00FF 00020000
	s_mov_b32 s31, 0x20000                                     // 0000000030DC: BE9F00FF 00020000
	s_mov_b32 s35, 0x20000                                     // 0000000030E4: BEA300FF 00020000
	s_mov_b32 s39, 0x20000                                     // 0000000030EC: BEA700FF 00020000
	s_mov_b32 s19, 0x20000                                     // 0000000030F4: BE9300FF 00020000
	s_and_b32 s21, s21, 0xffff                                 // 0000000030FC: 8615FF15 0000FFFF
	s_and_b32 s25, s25, 0xffff                                 // 000000003104: 8619FF19 0000FFFF
	s_and_b32 s13, s13, 0xffff                                 // 00000000310C: 860DFF0D 0000FFFF
	s_and_b32 s41, s41, 0xffff                                 // 000000003114: 8629FF29 0000FFFF
	s_and_b32 s29, s29, 0xffff                                 // 00000000311C: 861DFF1D 0000FFFF
	s_and_b32 s33, s33, 0xffff                                 // 000000003124: 8621FF21 0000FFFF
	s_and_b32 s37, s37, 0xffff                                 // 00000000312C: 8625FF25 0000FFFF
	s_and_b32 s17, s17, 0xffff                                 // 000000003134: 8611FF11 0000FFFF
	s_or_b32 s21, s21, 0x40000                                 // 00000000313C: 8715FF15 00040000
	s_or_b32 s25, s25, 0x40000                                 // 000000003144: 8719FF19 00040000
	s_or_b32 s13, s13, 0x40000                                 // 00000000314C: 870DFF0D 00040000
	s_or_b32 s41, s41, 0x40000                                 // 000000003154: 8729FF29 00040000
	s_or_b32 s29, s29, 0x40000                                 // 00000000315C: 871DFF1D 00040000
	s_or_b32 s33, s33, 0x40000                                 // 000000003164: 8721FF21 00040000
	s_or_b32 s37, s37, 0x40000                                 // 00000000316C: 8725FF25 00040000
	s_or_b32 s17, s17, 0x40000                                 // 000000003174: 8711FF11 00040000
	v_accvgpr_write_b32 a95, 0                                 // 00000000317C: D3D9405F 18000080
	v_mov_b32_e32 v215, 0                                      // 000000003184: 7FAE0280
	s_waitcnt lgkmcnt(0)                                       // 000000003188: BF8CC07F
	s_mul_i32 s60, s3, 32                                      // 00000000318C: 923CA003
	s_cmp_lt_i32 s60, s50                                      // 000000003190: BF04323C
	s_cbranch_scc0 label_1680                                  // 000000003194: BF84159A
	s_mov_b32 s80, 0                                           // 000000003198: BED00080
	s_mov_b32 s81, s64                                         // 00000000319C: BED10040
	s_mul_i32 s60, s3, 4                                       // 0000000031A0: 923C8403
	s_add_u32 s46, s60, s46                                    // 0000000031A4: 802E2E3C
	s_addc_u32 s47, 0, s47                                     // 0000000031A8: 822F2F80
	s_load_dword s5, s[46:47], 0x0                             // 0000000031AC: C0020157 00000000
	s_mul_i32 s60, s3, 32                                      // 0000000031B4: 923CA003
	s_mul_i32 s60, 4, s60                                      // 0000000031B8: 923C3C84
	v_and_b32_e32 v44, 15, v0                                  // 0000000031BC: 2658008F
	v_lshlrev_b32_e32 v44, 2, v44                              // 0000000031C0: 24585882
	v_add_u32_e32 v44, s60, v44                                // 0000000031C4: 6858583C
	v_mov_b32_e32 v45, 0                                       // 0000000031C8: 7E5A0280
	global_load_dword v6, v44, s[44:45]                        // 0000000031CC: DC508000 062C002C
	v_add_u32_e32 v44, 64, v44                                 // 0000000031D4: 685858C0
	global_load_dword v7, v44, s[44:45]                        // 0000000031D8: DC508000 072C002C
	s_mul_i32 s60, s3, 32                                      // 0000000031E0: 923CA003
	s_add_u32 s60, s7, s60                                     // 0000000031E4: 803C3C07
	s_mul_i32 s60, 4, s60                                      // 0000000031E8: 923C3C84
	s_add_u32 s44, s60, s44                                    // 0000000031EC: 802C2C3C
	s_addc_u32 s45, 0, s45                                     // 0000000031F0: 822D2D80
	s_load_dword s82, s[44:45], 0x0                            // 0000000031F4: C0021496 00000000
	s_load_dword s83, s[44:45], 0x10                           // 0000000031FC: C00214D6 00000010
	s_load_dword s84, s[44:45], 0x20                           // 000000003204: C0021516 00000020
	s_load_dword s85, s[44:45], 0x30                           // 00000000320C: C0021556 00000030
	s_load_dword s86, s[44:45], 0x40                           // 000000003214: C0021596 00000040
	s_load_dword s87, s[44:45], 0x50                           // 00000000321C: C00215D6 00000050
	s_load_dword s88, s[44:45], 0x60                           // 000000003224: C0021616 00000060
	s_load_dword s89, s[44:45], 0x70                           // 00000000322C: C0021656 00000070
	s_waitcnt lgkmcnt(0)                                       // 000000003234: BF8CC07F
	v_lshlrev_b32_e32 v44, 2, v0                               // 000000003238: 24580082
	s_lshr_b32 s61, s82, 24                                    // 00000000323C: 8F3D9852
	s_mul_i32 s61, s61, s68                                    // 000000003240: 923D443D
	s_mul_i32 s61, s61, s66                                    // 000000003244: 923D423D
	s_and_b32 s82, s82, 0xffffff                               // 000000003248: 8652FF52 00FFFFFF
	s_mul_i32 s60, s82, s68                                    // 000000003250: 923C4452
	s_add_u32 s60, s61, s60                                    // 000000003254: 803C3C3D
	v_add_u32_e64 v24, v44, s60                                // 000000003258: D1340018 0000792C
	s_lshr_b32 s61, s83, 24                                    // 000000003260: 8F3D9853
	s_mul_i32 s61, s61, s68                                    // 000000003264: 923D443D
	s_mul_i32 s61, s61, s66                                    // 000000003268: 923D423D
	s_and_b32 s83, s83, 0xffffff                               // 00000000326C: 8653FF53 00FFFFFF
	s_mul_i32 s60, s83, s68                                    // 000000003274: 923C4453
	s_add_u32 s60, s61, s60                                    // 000000003278: 803C3C3D
	v_add_u32_e64 v25, v44, s60                                // 00000000327C: D1340019 0000792C
	s_lshr_b32 s61, s84, 24                                    // 000000003284: 8F3D9854
	s_mul_i32 s61, s61, s68                                    // 000000003288: 923D443D
	s_mul_i32 s61, s61, s66                                    // 00000000328C: 923D423D
	s_and_b32 s84, s84, 0xffffff                               // 000000003290: 8654FF54 00FFFFFF
	s_mul_i32 s60, s84, s68                                    // 000000003298: 923C4454
	s_add_u32 s60, s61, s60                                    // 00000000329C: 803C3C3D
	v_add_u32_e64 v26, v44, s60                                // 0000000032A0: D134001A 0000792C
	s_lshr_b32 s61, s85, 24                                    // 0000000032A8: 8F3D9855
	s_mul_i32 s61, s61, s68                                    // 0000000032AC: 923D443D
	s_mul_i32 s61, s61, s66                                    // 0000000032B0: 923D423D
	s_and_b32 s85, s85, 0xffffff                               // 0000000032B4: 8655FF55 00FFFFFF
	s_mul_i32 s60, s85, s68                                    // 0000000032BC: 923C4455
	s_add_u32 s60, s61, s60                                    // 0000000032C0: 803C3C3D
	v_add_u32_e64 v27, v44, s60                                // 0000000032C4: D134001B 0000792C
	s_lshr_b32 s61, s86, 24                                    // 0000000032CC: 8F3D9856
	s_mul_i32 s61, s61, s68                                    // 0000000032D0: 923D443D
	s_mul_i32 s61, s61, s66                                    // 0000000032D4: 923D423D
	s_and_b32 s86, s86, 0xffffff                               // 0000000032D8: 8656FF56 00FFFFFF
	s_mul_i32 s60, s86, s68                                    // 0000000032E0: 923C4456
	s_add_u32 s60, s61, s60                                    // 0000000032E4: 803C3C3D
	v_add_u32_e64 v28, v44, s60                                // 0000000032E8: D134001C 0000792C
	s_lshr_b32 s61, s87, 24                                    // 0000000032F0: 8F3D9857
	s_mul_i32 s61, s61, s68                                    // 0000000032F4: 923D443D
	s_mul_i32 s61, s61, s66                                    // 0000000032F8: 923D423D
	s_and_b32 s87, s87, 0xffffff                               // 0000000032FC: 8657FF57 00FFFFFF
	s_mul_i32 s60, s87, s68                                    // 000000003304: 923C4457
	s_add_u32 s60, s61, s60                                    // 000000003308: 803C3C3D
	v_add_u32_e64 v29, v44, s60                                // 00000000330C: D134001D 0000792C
	s_lshr_b32 s61, s88, 24                                    // 000000003314: 8F3D9858
	s_mul_i32 s61, s61, s68                                    // 000000003318: 923D443D
	s_mul_i32 s61, s61, s66                                    // 00000000331C: 923D423D
	s_and_b32 s88, s88, 0xffffff                               // 000000003320: 8658FF58 00FFFFFF
	s_mul_i32 s60, s88, s68                                    // 000000003328: 923C4458
	s_add_u32 s60, s61, s60                                    // 00000000332C: 803C3C3D
	v_add_u32_e64 v30, v44, s60                                // 000000003330: D134001E 0000792C
	s_lshr_b32 s61, s89, 24                                    // 000000003338: 8F3D9859
	s_mul_i32 s61, s61, s68                                    // 00000000333C: 923D443D
	s_mul_i32 s61, s61, s66                                    // 000000003340: 923D423D
	s_and_b32 s89, s89, 0xffffff                               // 000000003344: 8659FF59 00FFFFFF
	s_mul_i32 s60, s89, s68                                    // 00000000334C: 923C4459
	s_add_u32 s60, s61, s60                                    // 000000003350: 803C3C3D
	v_add_u32_e64 v31, v44, s60                                // 000000003354: D134001F 0000792C
	v_lshlrev_b32_e32 v44, 2, v0                               // 00000000335C: 24580082
	s_mul_i32 s60, s82, s71                                    // 000000003360: 923C4752
	v_add_u32_e64 v80, v44, s60                                // 000000003364: D1340050 0000792C
	v_mov_b32_e32 v81, 0                                       // 00000000336C: 7EA20280
	s_mul_i32 s60, s83, s71                                    // 000000003370: 923C4753
	v_add_u32_e64 v82, v44, s60                                // 000000003374: D1340052 0000792C
	v_mov_b32_e32 v83, 0                                       // 00000000337C: 7EA60280
	s_mul_i32 s60, s84, s71                                    // 000000003380: 923C4754
	v_add_u32_e64 v84, v44, s60                                // 000000003384: D1340054 0000792C
	v_mov_b32_e32 v85, 0                                       // 00000000338C: 7EAA0280
	s_mul_i32 s60, s85, s71                                    // 000000003390: 923C4755
	v_add_u32_e64 v86, v44, s60                                // 000000003394: D1340056 0000792C
	v_mov_b32_e32 v87, 0                                       // 00000000339C: 7EAE0280
	s_mul_i32 s60, s86, s71                                    // 0000000033A0: 923C4756
	v_add_u32_e64 v88, v44, s60                                // 0000000033A4: D1340058 0000792C
	v_mov_b32_e32 v89, 0                                       // 0000000033AC: 7EB20280
	s_mul_i32 s60, s87, s71                                    // 0000000033B0: 923C4757
	v_add_u32_e64 v90, v44, s60                                // 0000000033B4: D134005A 0000792C
	v_mov_b32_e32 v91, 0                                       // 0000000033BC: 7EB60280
	s_mul_i32 s60, s88, s71                                    // 0000000033C0: 923C4758
	v_add_u32_e64 v92, v44, s60                                // 0000000033C4: D134005C 0000792C
	v_mov_b32_e32 v93, 0                                       // 0000000033CC: 7EBA0280
	s_mul_i32 s60, s89, s71                                    // 0000000033D0: 923C4759
	v_add_u32_e64 v94, v44, s60                                // 0000000033D4: D134005E 0000792C
	v_mov_b32_e32 v95, 0                                       // 0000000033DC: 7EBE0280
	s_mul_i32 s60, s7, 0x820                                   // 0000000033E0: 923CFF07 00000820
	s_add_u32 s50, 0, s60                                      // 0000000033E8: 80323C80
	s_add_u32 s51, 0x2080, s50                                 // 0000000033EC: 803332FF 00002080
	v_lshrrev_b32_e32 v44, 4, v0                               // 0000000033F4: 20580084
	v_lshlrev_b32_e32 v45, 2, v44                              // 0000000033F8: 245A5882
	v_and_b32_e32 v44, 15, v0                                  // 0000000033FC: 2658008F
	v_lshrrev_b32_e32 v46, 2, v44                              // 000000003400: 205C5882
	v_lshlrev_b32_e32 v46, 6, v46                              // 000000003404: 245C5C86
	v_add_u32_e32 v45, v46, v45                                // 000000003408: 685A5B2E
	v_and_b32_e32 v44, 3, v0                                   // 00000000340C: 26580083
	v_mul_i32_i24_e32 v46, 0x208, v44                          // 000000003410: 0C5C58FF 00000208
	v_add_u32_e32 v45, v46, v45                                // 000000003418: 685A5B2E
	v_lshlrev_b32_e32 v2, 2, v45                               // 00000000341C: 24045A82
	s_mul_i32 s60, s2, 0xc0                                    // 000000003420: 923CFF02 000000C0
	s_mul_i32 s60, s60, s69                                    // 000000003428: 923C453C
	s_mul_i32 s61, s5, s72                                     // 00000000342C: 923D4805
	s_add_u32 s60, s61, s60                                    // 000000003430: 803C3C3D
	s_add_u32 s24, s60, s24                                    // 000000003434: 8018183C
	s_addc_u32 s25, 0, s25                                     // 000000003438: 82191980
	s_mul_i32 s60, s7, 16                                      // 00000000343C: 923C9007
	s_mul_i32 s60, s60, s69                                    // 000000003440: 923C453C
	v_lshlrev_b32_e32 v32, 4, v0                               // 000000003444: 24400084
	v_add_u32_e32 v32, s60, v32                                // 000000003448: 6840403C
	s_mul_i32 s60, 64, s69                                     // 00000000344C: 923C45C0
	v_add_u32_e32 v33, s60, v32                                // 000000003450: 6842403C
	v_add_u32_e32 v34, s60, v33                                // 000000003454: 6844423C
	s_mov_b32 s92, s24                                         // 000000003458: BEDC0018
	s_mov_b32 s93, s25                                         // 00000000345C: BEDD0019
	s_mov_b32 s94, s26                                         // 000000003460: BEDE001A
	s_mov_b32 s95, s27                                         // 000000003464: BEDF001B
	s_mul_i32 s60, s69, s65                                    // 000000003468: 923C4145
	s_add_u32 s92, s60, s92                                    // 00000000346C: 805C5C3C
	s_addc_u32 s93, 0, s93                                     // 000000003470: 825D5D80
	s_mul_i32 s60, s2, 0xc00                                   // 000000003474: 923CFF02 00000C00
	s_mul_i32 s61, s5, s73                                     // 00000000347C: 923D4905
	s_add_u32 s60, s61, s60                                    // 000000003480: 803C3C3D
	s_add_u32 s12, s60, s12                                    // 000000003484: 800C0C3C
	s_addc_u32 s13, 0, s13                                     // 000000003488: 820D0D80
	s_mul_i32 s60, s7, 16                                      // 00000000348C: 923C9007
	s_mul_i32 s60, s60, s70                                    // 000000003490: 923C463C
	v_lshlrev_b32_e32 v35, 4, v0                               // 000000003494: 24460084
	v_add_u32_e32 v35, s60, v35                                // 000000003498: 6846463C
	s_mul_i32 s60, 64, s70                                     // 00000000349C: 923C46C0
	v_add_u32_e32 v36, s60, v35                                // 0000000034A0: 6848463C
	v_add_u32_e32 v37, s60, v36                                // 0000000034A4: 684A483C
	v_add_u32_e32 v38, s60, v37                                // 0000000034A8: 684C4A3C
	s_mul_i32 s60, s70, 0x100                                  // 0000000034AC: 923CFF46 00000100
	s_mov_b32 s78, 0x400                                       // 0000000034B4: BECE00FF 00000400
	s_mul_i32 s61, s78, 2                                      // 0000000034BC: 923D824E
	s_sub_u32 s56, s60, s61                                    // 0000000034C0: 80B83D3C
	s_mul_i32 s60, s3, 32                                      // 0000000034C4: 923CA003
	s_mul_i32 s60, 4, s60                                      // 0000000034C8: 923C3C84
	s_add_u32 s40, s60, s40                                    // 0000000034CC: 8028283C
	s_addc_u32 s41, 0, s41                                     // 0000000034D0: 82292980
	v_and_b32_e32 v44, 15, v0                                  // 0000000034D4: 2658008F
	v_lshlrev_b32_e32 v8, 2, v44                               // 0000000034D8: 24105882
	v_add_u32_e32 v9, 64, v8                                   // 0000000034DC: 681210C0
	v_lshrrev_b32_e32 v44, 4, v0                               // 0000000034E0: 20580084
	v_lshlrev_b32_e32 v45, 2, v44                              // 0000000034E4: 245A5882
	v_and_b32_e32 v44, 15, v0                                  // 0000000034E8: 2658008F
	v_lshrrev_b32_e32 v46, 2, v44                              // 0000000034EC: 205C5882
	v_lshlrev_b32_e32 v46, 6, v46                              // 0000000034F0: 245C5C86
	v_add_u32_e32 v45, v46, v45                                // 0000000034F4: 685A5B2E
	v_and_b32_e32 v44, 3, v0                                   // 0000000034F8: 26580083
	v_add_u32_e32 v45, v44, v45                                // 0000000034FC: 685A5B2C
	v_lshlrev_b32_e32 v10, 2, v45                              // 000000003500: 24145A82
	v_add_u32_e32 v11, 0x400, v10                              // 000000003504: 681614FF 00000400
	s_mul_i32 s60, s7, 16                                      // 00000000350C: 923C9007
	s_mul_i32 s60, s60, 4                                      // 000000003510: 923C843C
	v_add_u32_e32 v10, s60, v10                                // 000000003514: 6814143C
	v_add_u32_e32 v11, s60, v11                                // 000000003518: 6816163C
	v_mov_b32_e32 v5, v10                                      // 00000000351C: 7E0A030A
	s_mul_i32 s60, s2, 0xc0                                    // 000000003520: 923CFF02 000000C0
	s_mul_i32 s60, s60, 4                                      // 000000003528: 923C843C
	s_mul_i32 s61, s5, s74                                     // 00000000352C: 923D4A05
	s_add_u32 s61, s61, s60                                    // 000000003530: 803D3C3D
	s_mul_i32 s62, s5, s76                                     // 000000003534: 923E4C05
	s_add_u32 s62, s62, s60                                    // 000000003538: 803E3C3E
	s_add_u32 s32, s61, s32                                    // 00000000353C: 8020203D
	s_addc_u32 s33, 0, s33                                     // 000000003540: 82212180
	s_add_u32 s36, s62, s36                                    // 000000003544: 8024243E
	s_addc_u32 s37, 0, s37                                     // 000000003548: 82252580
	s_mul_i32 s60, s5, s75                                     // 00000000354C: 923C4B05
	s_add_u32 s16, s60, s16                                    // 000000003550: 8010103C
	s_addc_u32 s17, 0, s17                                     // 000000003554: 82111180
	s_mov_b32 s57, 0x100                                       // 000000003558: BEB900FF 00000100
	s_mov_b32 s58, 0x1000                                      // 000000003560: BEBA00FF 00001000
	s_mov_b32 s79, 0x400                                       // 000000003568: BECF00FF 00000400
	s_mov_b32 s59, 0x200                                       // 000000003570: BEBB00FF 00000200
	s_mov_b32 s90, s58                                         // 000000003578: BEDA003A
	s_mov_b32 s52, 0x7060302                                   // 00000000357C: BEB400FF 07060302
	s_mov_b32 s53, 0x400                                       // 000000003584: BEB500FF 00000400
	s_mov_b32 s54, 0x40100                                     // 00000000358C: BEB600FF 00040100
	s_mov_b32 s55, 0x4020100                                   // 000000003594: BEB700FF 04020100
	s_mov_b32 s6, 0x3fb8aa3b                                   // 00000000359C: BE8600FF 3FB8AA3B
	s_mov_b32 s77, 0xbd92220c                                  // 0000000035A4: BECD00FF BD92220C
	s_mov_b32 m0, s50                                          // 0000000035AC: BEFC0032
	v_mov_b32_e32 v1, 0xbfcc4231                               // 0000000035B0: 7E0202FF BFCC4231
	v_mov_b32_e32 v40, 0xffff0000                              // 0000000035B8: 7E5002FF FFFF0000
	v_mov_b32_e32 v41, 0x7fff0000                              // 0000000035C0: 7E5202FF 7FFF0000
	v_mov_b32_e32 v42, 0x7fff                                  // 0000000035C8: 7E5402FF 00007FFF
	s_waitcnt vmcnt(0) expcnt(0) lgkmcnt(0)                    // 0000000035D0: BF8C0000
	v_lshrrev_b32_e32 v44, 24, v6                              // 0000000035D4: 20580C98
	v_mul_i32_i24_e32 v44, s66, v44                            // 0000000035D8: 0C585842
	v_and_b32_e32 v45, 0xffffff, v6                            // 0000000035DC: 265A0CFF 00FFFFFF
	v_add_u32_e32 v6, v44, v45                                 // 0000000035E4: 680C5B2C
	v_lshrrev_b32_e32 v44, 24, v7                              // 0000000035E8: 20580E98
	v_mul_i32_i24_e32 v44, s66, v44                            // 0000000035EC: 0C585842
	v_and_b32_e32 v45, 0xffffff, v7                            // 0000000035F0: 265A0EFF 00FFFFFF
	v_add_u32_e32 v7, v44, v45                                 // 0000000035F8: 680E5B2C
	v_lshlrev_b32_e32 v6, 2, v6                                // 0000000035FC: 240C0C82
	v_lshlrev_b32_e32 v7, 2, v7                                // 000000003600: 240E0E82
	buffer_load_dword v13, v6, s[28:31], 0 offen               // 000000003604: E0501000 80070D06
	buffer_load_dword v14, v7, s[28:31], 0 offen               // 00000000360C: E0501000 80070E07
	buffer_load_dword v15, v10, s[32:35], 0 offen              // 000000003614: E0501000 80080F0A
	buffer_load_dword v16, v11, s[32:35], 0 offen              // 00000000361C: E0501000 8008100B
	s_mul_i32 s60, 4, s65                                      // 000000003624: 923C4184
	s_add_u32 s32, s60, s32                                    // 000000003628: 8020203C
	s_addc_u32 s33, 0, s33                                     // 00000000362C: 82212180
	buffer_load_dword v43, v10, s[32:35], 0 offen              // 000000003630: E0501000 80082B0A
	buffer_load_dword v44, v11, s[32:35], 0 offen              // 000000003638: E0501000 80082C0B
	buffer_load_dword v16, v10, s[36:39], 0 offen              // 000000003640: E0501000 8009100A
	buffer_load_dword v17, v11, s[36:39], 0 offen              // 000000003648: E0501000 8009110B
	buffer_load_dword v17, v8, s[40:43], 0 offen               // 000000003650: E0501000 800A1108
	buffer_load_dword v18, v9, s[40:43], 0 offen               // 000000003658: E0501000 800A1209
	buffer_load_dword v24, s[20:23], 0 offen lds               // 000000003660: E0511000 80050018
	s_add_u32 m0, 0x100, s50                                   // 000000003668: 807C32FF 00000100
	buffer_load_dword v25, s[20:23], 0 offen lds               // 000000003670: E0511000 80050019
	s_add_u32 m0, 0x200, s50                                   // 000000003678: 807C32FF 00000200
	buffer_load_dword v26, s[20:23], 0 offen lds               // 000000003680: E0511000 8005001A
	s_add_u32 m0, 0x300, s50                                   // 000000003688: 807C32FF 00000300
	buffer_load_dword v27, s[20:23], 0 offen lds               // 000000003690: E0511000 8005001B
	s_add_u32 m0, 0x400, s50                                   // 000000003698: 807C32FF 00000400
	buffer_load_dword v28, s[20:23], 0 offen lds               // 0000000036A0: E0511000 8005001C
	s_add_u32 m0, 0x500, s50                                   // 0000000036A8: 807C32FF 00000500
	buffer_load_dword v29, s[20:23], 0 offen lds               // 0000000036B0: E0511000 8005001D
	s_add_u32 m0, 0x600, s50                                   // 0000000036B8: 807C32FF 00000600
	buffer_load_dword v30, s[20:23], 0 offen lds               // 0000000036C0: E0511000 8005001E
	s_add_u32 m0, 0x700, s50                                   // 0000000036C8: 807C32FF 00000700
	buffer_load_dword v31, s[20:23], 0 offen lds               // 0000000036D0: E0511000 8005001F
	s_add_u32 m0, 0, s51                                       // 0000000036D8: 807C3380
	s_add_u32 s20, s57, s20                                    // 0000000036DC: 80141439
	s_addc_u32 s21, 0, s21                                     // 0000000036E0: 82151580
	buffer_load_dwordx4 a[0:3], v32, s[24:27], 0 offen         // 0000000036E4: E05C1000 80860020
	buffer_load_dwordx4 a[4:7], v32, s[24:27], 0 offen offset:1024// 0000000036EC: E05C1400 80860420
	buffer_load_dwordx4 a[8:11], v32, s[24:27], 0 offen offset:2048// 0000000036F4: E05C1800 80860820
	buffer_load_dwordx4 a[12:15], v32, s[24:27], 0 offen offset:3072// 0000000036FC: E05C1C00 80860C20
	buffer_load_dwordx4 a[16:19], v33, s[24:27], 0 offen       // 000000003704: E05C1000 80861021
	buffer_load_dwordx4 a[20:23], v33, s[24:27], 0 offen offset:1024// 00000000370C: E05C1400 80861421
	buffer_load_dwordx4 a[24:27], v33, s[24:27], 0 offen offset:2048// 000000003714: E05C1800 80861821
	buffer_load_dwordx4 a[28:31], v33, s[24:27], 0 offen offset:3072// 00000000371C: E05C1C00 80861C21
	buffer_load_dwordx4 a[32:35], v34, s[24:27], 0 offen       // 000000003724: E05C1000 80862022
	buffer_load_dwordx4 a[36:39], v34, s[24:27], 0 offen offset:1024// 00000000372C: E05C1400 80862422
	buffer_load_dwordx4 a[40:43], v34, s[24:27], 0 offen offset:2048// 000000003734: E05C1800 80862822
	buffer_load_dwordx4 a[44:47], v34, s[24:27], 0 offen offset:3072// 00000000373C: E05C1C00 80862C22
	s_add_u32 s24, s58, s24                                    // 000000003744: 8018183A
	s_addc_u32 s25, 0, s25                                     // 000000003748: 82191980
	v_mov_b32_e32 v128, 0                                      // 00000000374C: 7F000280
	v_mov_b32_e32 v64, 0                                       // 000000003750: 7E800280
	v_mov_b32_e32 v129, 0                                      // 000000003754: 7F020280
	v_mov_b32_e32 v65, 0                                       // 000000003758: 7E820280
	v_mov_b32_e32 v130, 0                                      // 00000000375C: 7F040280
	v_mov_b32_e32 v66, 0                                       // 000000003760: 7E840280
	v_mov_b32_e32 v131, 0                                      // 000000003764: 7F060280
	v_mov_b32_e32 v67, 0                                       // 000000003768: 7E860280
	v_mov_b32_e32 v132, 0                                      // 00000000376C: 7F080280
	v_mov_b32_e32 v68, 0                                       // 000000003770: 7E880280
	v_mov_b32_e32 v133, 0                                      // 000000003774: 7F0A0280
	v_mov_b32_e32 v69, 0                                       // 000000003778: 7E8A0280
	v_mov_b32_e32 v134, 0                                      // 00000000377C: 7F0C0280
	v_mov_b32_e32 v70, 0                                       // 000000003780: 7E8C0280
	v_mov_b32_e32 v135, 0                                      // 000000003784: 7F0E0280
	v_mov_b32_e32 v71, 0                                       // 000000003788: 7E8E0280
	v_mov_b32_e32 v136, 0                                      // 00000000378C: 7F100280
	v_mov_b32_e32 v72, 0                                       // 000000003790: 7E900280
	v_mov_b32_e32 v137, 0                                      // 000000003794: 7F120280
	v_mov_b32_e32 v73, 0                                       // 000000003798: 7E920280
	v_mov_b32_e32 v138, 0                                      // 00000000379C: 7F140280
	v_mov_b32_e32 v74, 0                                       // 0000000037A0: 7E940280
	v_mov_b32_e32 v139, 0                                      // 0000000037A4: 7F160280
	v_mov_b32_e32 v75, 0                                       // 0000000037A8: 7E960280
	v_mov_b32_e32 v140, 0                                      // 0000000037AC: 7F180280
	v_mov_b32_e32 v76, 0                                       // 0000000037B0: 7E980280
	v_mov_b32_e32 v141, 0                                      // 0000000037B4: 7F1A0280
	v_mov_b32_e32 v77, 0                                       // 0000000037B8: 7E9A0280
	v_mov_b32_e32 v142, 0                                      // 0000000037BC: 7F1C0280
	v_mov_b32_e32 v78, 0                                       // 0000000037C0: 7E9C0280
	v_mov_b32_e32 v143, 0                                      // 0000000037C4: 7F1E0280
	v_mov_b32_e32 v79, 0                                       // 0000000037C8: 7E9E0280
	v_mov_b32_e32 v144, 0                                      // 0000000037CC: 7F200280
	v_mov_b32_e32 v80, 0                                       // 0000000037D0: 7EA00280
	v_mov_b32_e32 v145, 0                                      // 0000000037D4: 7F220280
	v_mov_b32_e32 v81, 0                                       // 0000000037D8: 7EA20280
	v_mov_b32_e32 v146, 0                                      // 0000000037DC: 7F240280
	v_mov_b32_e32 v82, 0                                       // 0000000037E0: 7EA40280
	v_mov_b32_e32 v147, 0                                      // 0000000037E4: 7F260280
	v_mov_b32_e32 v83, 0                                       // 0000000037E8: 7EA60280
	v_mov_b32_e32 v148, 0                                      // 0000000037EC: 7F280280
	v_mov_b32_e32 v84, 0                                       // 0000000037F0: 7EA80280
	v_mov_b32_e32 v149, 0                                      // 0000000037F4: 7F2A0280
	v_mov_b32_e32 v85, 0                                       // 0000000037F8: 7EAA0280
	v_mov_b32_e32 v150, 0                                      // 0000000037FC: 7F2C0280
	v_mov_b32_e32 v86, 0                                       // 000000003800: 7EAC0280
	v_mov_b32_e32 v151, 0                                      // 000000003804: 7F2E0280
	v_mov_b32_e32 v87, 0                                       // 000000003808: 7EAE0280
	v_lshrrev_b32_e32 v44, 4, v0                               // 00000000380C: 20580084
	v_mul_i32_i24_e32 v3, 34, v44                              // 000000003810: 0C0658A2
	v_and_b32_e32 v44, 15, v0                                  // 000000003814: 2658008F
	v_mul_i32_i24_e32 v45, 2, v44                              // 000000003818: 0C5A5882
	v_add_u32_e32 v3, v45, v3                                  // 00000000381C: 6806072D
	s_mul_i32 s60, s7, 0x88                                    // 000000003820: 923CFF07 00000088
	v_add_u32_e32 v3, s60, v3                                  // 000000003828: 6806063C
	v_lshlrev_b32_e32 v3, 2, v3                                // 00000000382C: 24060682
	v_lshrrev_b32_e32 v44, 1, v0                               // 000000003830: 20580081
	v_mul_i32_i24_e32 v4, 34, v44                              // 000000003834: 0C0858A2
	v_and_b32_e32 v45, 1, v0                                   // 000000003838: 265A0081
	v_add_u32_e32 v4, v45, v4                                  // 00000000383C: 6808092D
	s_mul_i32 s60, s7, 2                                       // 000000003840: 923C8207
	v_add_u32_e32 v4, s60, v4                                  // 000000003844: 6808083C
	v_lshlrev_b32_e32 v4, 2, v4                                // 000000003848: 24080882
	s_waitcnt vmcnt(12)                                        // 00000000384C: BF8C0F7C
	s_barrier                                                  // 000000003850: BF8A0000
	ds_read_b128 v[152:155], v2                                // 000000003854: D9FE0000 98000002
	ds_read_b128 v[156:159], v2 offset:64                      // 00000000385C: D9FE0040 9C000002
	ds_read_b128 v[160:163], v2 offset:128                     // 000000003864: D9FE0080 A0000002
	ds_read_b128 v[164:167], v2 offset:192                     // 00000000386C: D9FE00C0 A4000002
	ds_read_b128 v[168:171], v2 offset:1024                    // 000000003874: D9FE0400 A8000002
	ds_read_b128 v[172:175], v2 offset:1088                    // 00000000387C: D9FE0440 AC000002
	ds_read_b128 v[176:179], v2 offset:1152                    // 000000003884: D9FE0480 B0000002
	ds_read_b128 v[180:183], v2 offset:1216                    // 00000000388C: D9FE04C0 B4000002
	s_cmp_lt_i32 s7, 2                                         // 000000003894: BF048207
	s_cbranch_scc0 label_0C93                                  // 000000003898: BF8409EC

000000000000389c <label_02A7>:
	s_waitcnt vmcnt(4) lgkmcnt(0)                              // 00000000389C: BF8C0074
	s_barrier                                                  // 0000000038A0: BF8A0000
	v_mfma_f32_16x16x32_fp8_fp8 v[128:131], a[0:1], v[152:153], v[128:131]// 0000000038A4: D3F30080 0E033100
	v_mfma_f32_16x16x32_fp8_fp8 v[128:131], a[2:3], v[154:155], v[128:131]// 0000000038AC: D3F30080 0E033502
	buffer_load_dwordx4 a[48:51], v32, s[92:95], 0 offen       // 0000000038B4: E05C1000 80973020
	v_mfma_f32_16x16x32_fp8_fp8 v[128:131], a[4:5], v[156:157], v[128:131]// 0000000038BC: D3F30080 0E033904
	v_mfma_f32_16x16x32_fp8_fp8 v[128:131], a[6:7], v[158:159], v[128:131]// 0000000038C4: D3F30080 0E033D06
	buffer_load_dword v24, s[20:23], 0 offen lds               // 0000000038CC: E0511000 80050018
	s_add_u32 m0, 0x100, s51                                   // 0000000038D4: 807C33FF 00000100
	v_mfma_f32_16x16x32_fp8_fp8 v[128:131], a[8:9], v[160:161], v[128:131]// 0000000038DC: D3F30080 0E034108
	v_mfma_f32_16x16x32_fp8_fp8 v[128:131], a[10:11], v[162:163], v[128:131]// 0000000038E4: D3F30080 0E03450A
	buffer_load_dwordx4 a[52:55], v32, s[92:95], 0 offen offset:1024// 0000000038EC: E05C1400 80973420
	v_mfma_f32_16x16x32_fp8_fp8 v[128:131], a[12:13], v[164:165], v[128:131]// 0000000038F4: D3F30080 0E03490C
	v_mfma_f32_16x16x32_fp8_fp8 v[128:131], a[14:15], v[166:167], v[128:131]// 0000000038FC: D3F30080 0E034D0E
	buffer_load_dword v25, s[20:23], 0 offen lds               // 000000003904: E0511000 80050019
	s_add_u32 m0, 0x200, s51                                   // 00000000390C: 807C33FF 00000200
	v_mfma_f32_16x16x32_fp8_fp8 v[132:135], a[0:1], v[168:169], v[132:135]// 000000003914: D3F30084 0E135100
	v_mfma_f32_16x16x32_fp8_fp8 v[132:135], a[2:3], v[170:171], v[132:135]// 00000000391C: D3F30084 0E135502
	buffer_load_dwordx4 a[56:59], v32, s[92:95], 0 offen offset:2048// 000000003924: E05C1800 80973820
	v_mfma_f32_16x16x32_fp8_fp8 v[132:135], a[4:5], v[172:173], v[132:135]// 00000000392C: D3F30084 0E135904
	v_mfma_f32_16x16x32_fp8_fp8 v[132:135], a[6:7], v[174:175], v[132:135]// 000000003934: D3F30084 0E135D06
	buffer_load_dword v26, s[20:23], 0 offen lds               // 00000000393C: E0511000 8005001A
	s_add_u32 m0, 0x300, s51                                   // 000000003944: 807C33FF 00000300
	v_mfma_f32_16x16x32_fp8_fp8 v[132:135], a[8:9], v[176:177], v[132:135]// 00000000394C: D3F30084 0E136108
	v_mfma_f32_16x16x32_fp8_fp8 v[132:135], a[10:11], v[178:179], v[132:135]// 000000003954: D3F30084 0E13650A
	buffer_load_dwordx4 a[60:63], v32, s[92:95], 0 offen offset:3072// 00000000395C: E05C1C00 80973C20
	v_mfma_f32_16x16x32_fp8_fp8 v[132:135], a[12:13], v[180:181], v[132:135]// 000000003964: D3F30084 0E13690C
	v_mfma_f32_16x16x32_fp8_fp8 v[132:135], a[14:15], v[182:183], v[132:135]// 00000000396C: D3F30084 0E136D0E
	buffer_load_dword v27, s[20:23], 0 offen lds               // 000000003974: E0511000 8005001B
	s_add_u32 m0, 0x400, s51                                   // 00000000397C: 807C33FF 00000400
	v_mfma_f32_16x16x32_fp8_fp8 v[136:139], a[16:17], v[152:153], v[136:139]// 000000003984: D3F30088 0E233110
	v_mfma_f32_16x16x32_fp8_fp8 v[136:139], a[18:19], v[154:155], v[136:139]// 00000000398C: D3F30088 0E233512
	buffer_load_dwordx4 a[64:67], v33, s[92:95], 0 offen       // 000000003994: E05C1000 80974021
	v_mfma_f32_16x16x32_fp8_fp8 v[136:139], a[20:21], v[156:157], v[136:139]// 00000000399C: D3F30088 0E233914
	v_mfma_f32_16x16x32_fp8_fp8 v[136:139], a[22:23], v[158:159], v[136:139]// 0000000039A4: D3F30088 0E233D16
	buffer_load_dword v28, s[20:23], 0 offen lds               // 0000000039AC: E0511000 8005001C
	s_add_u32 m0, 0x500, s51                                   // 0000000039B4: 807C33FF 00000500
	v_mfma_f32_16x16x32_fp8_fp8 v[136:139], a[24:25], v[160:161], v[136:139]// 0000000039BC: D3F30088 0E234118
	v_mfma_f32_16x16x32_fp8_fp8 v[136:139], a[26:27], v[162:163], v[136:139]// 0000000039C4: D3F30088 0E23451A
	buffer_load_dwordx4 a[68:71], v33, s[92:95], 0 offen offset:1024// 0000000039CC: E05C1400 80974421
	v_mfma_f32_16x16x32_fp8_fp8 v[136:139], a[28:29], v[164:165], v[136:139]// 0000000039D4: D3F30088 0E23491C
	v_mfma_f32_16x16x32_fp8_fp8 v[136:139], a[30:31], v[166:167], v[136:139]// 0000000039DC: D3F30088 0E234D1E
	buffer_load_dword v29, s[20:23], 0 offen lds               // 0000000039E4: E0511000 8005001D
	s_add_u32 m0, 0x600, s51                                   // 0000000039EC: 807C33FF 00000600
	v_mfma_f32_16x16x32_fp8_fp8 v[140:143], a[16:17], v[168:169], v[140:143]// 0000000039F4: D3F3008C 0E335110
	v_mfma_f32_16x16x32_fp8_fp8 v[140:143], a[18:19], v[170:171], v[140:143]// 0000000039FC: D3F3008C 0E335512
	buffer_load_dwordx4 a[72:75], v33, s[92:95], 0 offen offset:2048// 000000003A04: E05C1800 80974821
	v_mfma_f32_16x16x32_fp8_fp8 v[140:143], a[20:21], v[172:173], v[140:143]// 000000003A0C: D3F3008C 0E335914
	v_mfma_f32_16x16x32_fp8_fp8 v[140:143], a[22:23], v[174:175], v[140:143]// 000000003A14: D3F3008C 0E335D16
	buffer_load_dword v30, s[20:23], 0 offen lds               // 000000003A1C: E0511000 8005001E
	s_add_u32 m0, 0x700, s51                                   // 000000003A24: 807C33FF 00000700
	v_mfma_f32_16x16x32_fp8_fp8 v[140:143], a[24:25], v[176:177], v[140:143]// 000000003A2C: D3F3008C 0E336118
	v_mfma_f32_16x16x32_fp8_fp8 v[140:143], a[26:27], v[178:179], v[140:143]// 000000003A34: D3F3008C 0E33651A
	buffer_load_dwordx4 a[76:79], v33, s[92:95], 0 offen offset:3072// 000000003A3C: E05C1C00 80974C21
	v_mfma_f32_16x16x32_fp8_fp8 v[140:143], a[28:29], v[180:181], v[140:143]// 000000003A44: D3F3008C 0E33691C
	v_mfma_f32_16x16x32_fp8_fp8 v[140:143], a[30:31], v[182:183], v[140:143]// 000000003A4C: D3F3008C 0E336D1E
	buffer_load_dword v31, s[20:23], 0 offen lds               // 000000003A54: E0511000 8005001F
	s_add_u32 m0, 0, s50                                       // 000000003A5C: 807C3280
	s_waitcnt vmcnt(16)                                        // 000000003A60: BF8C4F70
	v_mfma_f32_16x16x32_fp8_fp8 v[144:147], a[32:33], v[152:153], v[144:147]// 000000003A64: D3F30090 0E433120
	v_mfma_f32_16x16x32_fp8_fp8 v[144:147], a[34:35], v[154:155], v[144:147]// 000000003A6C: D3F30090 0E433522
	buffer_load_dwordx4 a[80:83], v34, s[92:95], 0 offen       // 000000003A74: E05C1000 80975022
	v_mfma_f32_16x16x32_fp8_fp8 v[144:147], a[36:37], v[156:157], v[144:147]// 000000003A7C: D3F30090 0E433924
	v_mfma_f32_16x16x32_fp8_fp8 v[144:147], a[38:39], v[158:159], v[144:147]// 000000003A84: D3F30090 0E433D26
	v_mfma_f32_16x16x32_fp8_fp8 v[144:147], a[40:41], v[160:161], v[144:147]// 000000003A8C: D3F30090 0E434128
	v_mfma_f32_16x16x32_fp8_fp8 v[144:147], a[42:43], v[162:163], v[144:147]// 000000003A94: D3F30090 0E43452A
	buffer_load_dwordx4 a[84:87], v34, s[92:95], 0 offen offset:1024// 000000003A9C: E05C1400 80975422
	v_mfma_f32_16x16x32_fp8_fp8 v[144:147], a[44:45], v[164:165], v[144:147]// 000000003AA4: D3F30090 0E43492C
	v_mfma_f32_16x16x32_fp8_fp8 v[144:147], a[46:47], v[166:167], v[144:147]// 000000003AAC: D3F30090 0E434D2E
	v_mfma_f32_16x16x32_fp8_fp8 v[148:151], a[32:33], v[168:169], v[148:151]// 000000003AB4: D3F30094 0E535120
	v_mfma_f32_16x16x32_fp8_fp8 v[148:151], a[34:35], v[170:171], v[148:151]// 000000003ABC: D3F30094 0E535522
	buffer_load_dwordx4 a[88:91], v34, s[92:95], 0 offen offset:2048// 000000003AC4: E05C1800 80975822
	v_mfma_f32_16x16x32_fp8_fp8 v[148:151], a[36:37], v[172:173], v[148:151]// 000000003ACC: D3F30094 0E535924
	v_mfma_f32_16x16x32_fp8_fp8 v[148:151], a[38:39], v[174:175], v[148:151]// 000000003AD4: D3F30094 0E535D26
	v_mfma_f32_16x16x32_fp8_fp8 v[148:151], a[40:41], v[176:177], v[148:151]// 000000003ADC: D3F30094 0E536128
	v_mfma_f32_16x16x32_fp8_fp8 v[148:151], a[42:43], v[178:179], v[148:151]// 000000003AE4: D3F30094 0E53652A
	buffer_load_dwordx4 a[92:95], v34, s[92:95], 0 offen offset:3072// 000000003AEC: E05C1C00 80975C22
	v_mfma_f32_16x16x32_fp8_fp8 v[148:151], a[44:45], v[180:181], v[148:151]// 000000003AF4: D3F30094 0E53692C
	v_mfma_f32_16x16x32_fp8_fp8 v[148:151], a[46:47], v[182:183], v[148:151]// 000000003AFC: D3F30094 0E536D2E
	s_waitcnt vmcnt(4)                                         // 000000003B04: BF8C0F74
	s_barrier                                                  // 000000003B08: BF8A0000
	v_mfma_f32_16x16x32_fp8_fp8 v[64:67], a[48:49], v[152:153], v[64:67]// 000000003B0C: D3F30040 0D033130
	v_mfma_f32_16x16x32_fp8_fp8 v[64:67], a[50:51], v[154:155], v[64:67]// 000000003B14: D3F30040 0D033532
	buffer_load_dwordx4 a[0:3], v32, s[24:27], 0 offen         // 000000003B1C: E05C1000 80860020
	v_mfma_f32_16x16x32_fp8_fp8 v[64:67], a[52:53], v[156:157], v[64:67]// 000000003B24: D3F30040 0D033934
	v_mfma_f32_16x16x32_fp8_fp8 v[64:67], a[54:55], v[158:159], v[64:67]// 000000003B2C: D3F30040 0D033D36
	v_mfma_f32_16x16x32_fp8_fp8 v[64:67], a[56:57], v[160:161], v[64:67]// 000000003B34: D3F30040 0D034138
	v_mfma_f32_16x16x32_fp8_fp8 v[64:67], a[58:59], v[162:163], v[64:67]// 000000003B3C: D3F30040 0D03453A
	buffer_load_dwordx4 a[4:7], v32, s[24:27], 0 offen offset:1024// 000000003B44: E05C1400 80860420
	v_mfma_f32_16x16x32_fp8_fp8 v[64:67], a[60:61], v[164:165], v[64:67]// 000000003B4C: D3F30040 0D03493C
	v_mfma_f32_16x16x32_fp8_fp8 v[64:67], a[62:63], v[166:167], v[64:67]// 000000003B54: D3F30040 0D034D3E
	v_mfma_f32_16x16x32_fp8_fp8 v[68:71], a[48:49], v[168:169], v[68:71]// 000000003B5C: D3F30044 0D135130
	v_mfma_f32_16x16x32_fp8_fp8 v[68:71], a[50:51], v[170:171], v[68:71]// 000000003B64: D3F30044 0D135532
	buffer_load_dwordx4 a[8:11], v32, s[24:27], 0 offen offset:2048// 000000003B6C: E05C1800 80860820
	v_mfma_f32_16x16x32_fp8_fp8 v[68:71], a[52:53], v[172:173], v[68:71]// 000000003B74: D3F30044 0D135934
	v_mfma_f32_16x16x32_fp8_fp8 v[68:71], a[54:55], v[174:175], v[68:71]// 000000003B7C: D3F30044 0D135D36
	v_mfma_f32_16x16x32_fp8_fp8 v[68:71], a[56:57], v[176:177], v[68:71]// 000000003B84: D3F30044 0D136138
	v_mfma_f32_16x16x32_fp8_fp8 v[68:71], a[58:59], v[178:179], v[68:71]// 000000003B8C: D3F30044 0D13653A
	buffer_load_dwordx4 a[12:15], v32, s[24:27], 0 offen offset:3072// 000000003B94: E05C1C00 80860C20
	v_mfma_f32_16x16x32_fp8_fp8 v[68:71], a[60:61], v[180:181], v[68:71]// 000000003B9C: D3F30044 0D13693C
	v_mfma_f32_16x16x32_fp8_fp8 v[68:71], a[62:63], v[182:183], v[68:71]// 000000003BA4: D3F30044 0D136D3E
	v_mfma_f32_16x16x32_fp8_fp8 v[72:75], a[64:65], v[152:153], v[72:75]// 000000003BAC: D3F30048 0D233140
	v_mfma_f32_16x16x32_fp8_fp8 v[72:75], a[66:67], v[154:155], v[72:75]// 000000003BB4: D3F30048 0D233542
	buffer_load_dwordx4 a[16:19], v33, s[24:27], 0 offen       // 000000003BBC: E05C1000 80861021
	v_mfma_f32_16x16x32_fp8_fp8 v[72:75], a[68:69], v[156:157], v[72:75]// 000000003BC4: D3F30048 0D233944
	v_mfma_f32_16x16x32_fp8_fp8 v[72:75], a[70:71], v[158:159], v[72:75]// 000000003BCC: D3F30048 0D233D46
	ds_read_b128 v[184:187], v2 offset:8320                    // 000000003BD4: D9FE2080 B8000002
	v_mfma_f32_16x16x32_fp8_fp8 v[72:75], a[72:73], v[160:161], v[72:75]// 000000003BDC: D3F30048 0D234148
	v_mfma_f32_16x16x32_fp8_fp8 v[72:75], a[74:75], v[162:163], v[72:75]// 000000003BE4: D3F30048 0D23454A
	buffer_load_dwordx4 a[20:23], v33, s[24:27], 0 offen offset:1024// 000000003BEC: E05C1400 80861421
	v_mfma_f32_16x16x32_fp8_fp8 v[72:75], a[76:77], v[164:165], v[72:75]// 000000003BF4: D3F30048 0D23494C
	v_mfma_f32_16x16x32_fp8_fp8 v[72:75], a[78:79], v[166:167], v[72:75]// 000000003BFC: D3F30048 0D234D4E
	ds_read_b128 v[188:191], v2 offset:8384                    // 000000003C04: D9FE20C0 BC000002
	v_mfma_f32_16x16x32_fp8_fp8 v[76:79], a[64:65], v[168:169], v[76:79]// 000000003C0C: D3F3004C 0D335140
	v_mfma_f32_16x16x32_fp8_fp8 v[76:79], a[66:67], v[170:171], v[76:79]// 000000003C14: D3F3004C 0D335542
	buffer_load_dwordx4 a[24:27], v33, s[24:27], 0 offen offset:2048// 000000003C1C: E05C1800 80861821
	v_mfma_f32_16x16x32_fp8_fp8 v[76:79], a[68:69], v[172:173], v[76:79]// 000000003C24: D3F3004C 0D335944
	v_mfma_f32_16x16x32_fp8_fp8 v[76:79], a[70:71], v[174:175], v[76:79]// 000000003C2C: D3F3004C 0D335D46
	ds_read_b128 v[192:195], v2 offset:8448                    // 000000003C34: D9FE2100 C0000002
	v_mfma_f32_16x16x32_fp8_fp8 v[76:79], a[72:73], v[176:177], v[76:79]// 000000003C3C: D3F3004C 0D336148
	v_mfma_f32_16x16x32_fp8_fp8 v[76:79], a[74:75], v[178:179], v[76:79]// 000000003C44: D3F3004C 0D33654A
	buffer_load_dwordx4 a[28:31], v33, s[24:27], 0 offen offset:3072// 000000003C4C: E05C1C00 80861C21
	v_mfma_f32_16x16x32_fp8_fp8 v[76:79], a[76:77], v[180:181], v[76:79]// 000000003C54: D3F3004C 0D33694C
	v_mfma_f32_16x16x32_fp8_fp8 v[76:79], a[78:79], v[182:183], v[76:79]// 000000003C5C: D3F3004C 0D336D4E
	ds_read_b128 v[196:199], v2 offset:8512                    // 000000003C64: D9FE2140 C4000002
	s_waitcnt vmcnt(8)                                         // 000000003C6C: BF8C0F78
	v_mfma_f32_16x16x32_fp8_fp8 v[80:83], a[80:81], v[152:153], v[80:83]// 000000003C70: D3F30050 0D433150
	v_mfma_f32_16x16x32_fp8_fp8 v[80:83], a[82:83], v[154:155], v[80:83]// 000000003C78: D3F30050 0D433552
	buffer_load_dwordx4 a[32:35], v34, s[24:27], 0 offen       // 000000003C80: E05C1000 80862022
	v_mfma_f32_16x16x32_fp8_fp8 v[80:83], a[84:85], v[156:157], v[80:83]// 000000003C88: D3F30050 0D433954
	v_mfma_f32_16x16x32_fp8_fp8 v[80:83], a[86:87], v[158:159], v[80:83]// 000000003C90: D3F30050 0D433D56
	ds_read_b128 v[200:203], v2 offset:9344                    // 000000003C98: D9FE2480 C8000002
	v_mfma_f32_16x16x32_fp8_fp8 v[80:83], a[88:89], v[160:161], v[80:83]// 000000003CA0: D3F30050 0D434158
	v_mfma_f32_16x16x32_fp8_fp8 v[80:83], a[90:91], v[162:163], v[80:83]// 000000003CA8: D3F30050 0D43455A
	buffer_load_dwordx4 a[36:39], v34, s[24:27], 0 offen offset:1024// 000000003CB0: E05C1400 80862422
	v_mfma_f32_16x16x32_fp8_fp8 v[80:83], a[92:93], v[164:165], v[80:83]// 000000003CB8: D3F30050 0D43495C
	v_mfma_f32_16x16x32_fp8_fp8 v[80:83], a[94:95], v[166:167], v[80:83]// 000000003CC0: D3F30050 0D434D5E
	ds_read_b128 v[204:207], v2 offset:9408                    // 000000003CC8: D9FE24C0 CC000002
	v_mfma_f32_16x16x32_fp8_fp8 v[84:87], a[80:81], v[168:169], v[84:87]// 000000003CD0: D3F30054 0D535150
	v_mfma_f32_16x16x32_fp8_fp8 v[84:87], a[82:83], v[170:171], v[84:87]// 000000003CD8: D3F30054 0D535552
	buffer_load_dwordx4 a[40:43], v34, s[24:27], 0 offen offset:2048// 000000003CE0: E05C1800 80862822
	v_mfma_f32_16x16x32_fp8_fp8 v[84:87], a[84:85], v[172:173], v[84:87]// 000000003CE8: D3F30054 0D535954
	v_mfma_f32_16x16x32_fp8_fp8 v[84:87], a[86:87], v[174:175], v[84:87]// 000000003CF0: D3F30054 0D535D56
	ds_read_b128 v[208:211], v2 offset:9472                    // 000000003CF8: D9FE2500 D0000002
	v_mfma_f32_16x16x32_fp8_fp8 v[84:87], a[88:89], v[176:177], v[84:87]// 000000003D00: D3F30054 0D536158
	v_mfma_f32_16x16x32_fp8_fp8 v[84:87], a[90:91], v[178:179], v[84:87]// 000000003D08: D3F30054 0D53655A
	buffer_load_dwordx4 a[44:47], v34, s[24:27], 0 offen offset:3072// 000000003D10: E05C1C00 80862C22
	v_mfma_f32_16x16x32_fp8_fp8 v[84:87], a[92:93], v[180:181], v[84:87]// 000000003D18: D3F30054 0D53695C
	v_mfma_f32_16x16x32_fp8_fp8 v[84:87], a[94:95], v[182:183], v[84:87]// 000000003D20: D3F30054 0D536D5E
	ds_read_b128 v[212:215], v2 offset:9536                    // 000000003D28: D9FE2540 D4000002
	s_add_u32 s60, 0x200, s80                                  // 000000003D30: 803C50FF 00000200
	s_cmp_lt_u32 s60, s81                                      // 000000003D38: BF0A513C
	s_cselect_b32 s57, s57, 0                                  // 000000003D3C: 85398039
	s_add_u32 s60, 0x200, s80                                  // 000000003D40: 803C50FF 00000200
	s_cmp_lt_u32 s60, s81                                      // 000000003D48: BF0A513C
	s_cselect_b32 s58, s58, 0                                  // 000000003D4C: 853A803A
	s_add_u32 s20, s57, s20                                    // 000000003D50: 80141439
	s_addc_u32 s21, 0, s21                                     // 000000003D54: 82151580
	s_add_u32 s24, s58, s24                                    // 000000003D58: 8018183A
	s_addc_u32 s25, 0, s25                                     // 000000003D5C: 82191980
	s_add_u32 s92, s90, s92                                    // 000000003D60: 805C5C5A
	s_addc_u32 s93, 0, s93                                     // 000000003D64: 825D5D80
	s_addk_i32 s80, 0x100                                      // 000000003D68: B7500100
	s_cmp_lt_i32 s80, s81                                      // 000000003D6C: BF045150
	s_cbranch_scc0 label_0514                                  // 000000003D70: BF840137
	s_waitcnt vmcnt(4) lgkmcnt(0)                              // 000000003D74: BF8C0074
	s_barrier                                                  // 000000003D78: BF8A0000
	v_mfma_f32_16x16x32_fp8_fp8 v[128:131], a[0:1], v[184:185], v[128:131]// 000000003D7C: D3F30080 0E037100
	v_mfma_f32_16x16x32_fp8_fp8 v[128:131], a[2:3], v[186:187], v[128:131]// 000000003D84: D3F30080 0E037502
	buffer_load_dwordx4 a[48:51], v32, s[92:95], 0 offen       // 000000003D8C: E05C1000 80973020
	v_mfma_f32_16x16x32_fp8_fp8 v[128:131], a[4:5], v[188:189], v[128:131]// 000000003D94: D3F30080 0E037904
	v_mfma_f32_16x16x32_fp8_fp8 v[128:131], a[6:7], v[190:191], v[128:131]// 000000003D9C: D3F30080 0E037D06
	buffer_load_dword v24, s[20:23], 0 offen lds               // 000000003DA4: E0511000 80050018
	s_add_u32 m0, 0x100, s50                                   // 000000003DAC: 807C32FF 00000100
	v_mfma_f32_16x16x32_fp8_fp8 v[128:131], a[8:9], v[192:193], v[128:131]// 000000003DB4: D3F30080 0E038108
	v_mfma_f32_16x16x32_fp8_fp8 v[128:131], a[10:11], v[194:195], v[128:131]// 000000003DBC: D3F30080 0E03850A
	buffer_load_dwordx4 a[52:55], v32, s[92:95], 0 offen offset:1024// 000000003DC4: E05C1400 80973420
	v_mfma_f32_16x16x32_fp8_fp8 v[128:131], a[12:13], v[196:197], v[128:131]// 000000003DCC: D3F30080 0E03890C
	v_mfma_f32_16x16x32_fp8_fp8 v[128:131], a[14:15], v[198:199], v[128:131]// 000000003DD4: D3F30080 0E038D0E
	buffer_load_dword v25, s[20:23], 0 offen lds               // 000000003DDC: E0511000 80050019
	s_add_u32 m0, 0x200, s50                                   // 000000003DE4: 807C32FF 00000200
	v_mfma_f32_16x16x32_fp8_fp8 v[132:135], a[0:1], v[200:201], v[132:135]// 000000003DEC: D3F30084 0E139100
	v_mfma_f32_16x16x32_fp8_fp8 v[132:135], a[2:3], v[202:203], v[132:135]// 000000003DF4: D3F30084 0E139502
	buffer_load_dwordx4 a[56:59], v32, s[92:95], 0 offen offset:2048// 000000003DFC: E05C1800 80973820
	v_mfma_f32_16x16x32_fp8_fp8 v[132:135], a[4:5], v[204:205], v[132:135]// 000000003E04: D3F30084 0E139904
	v_mfma_f32_16x16x32_fp8_fp8 v[132:135], a[6:7], v[206:207], v[132:135]// 000000003E0C: D3F30084 0E139D06
	buffer_load_dword v26, s[20:23], 0 offen lds               // 000000003E14: E0511000 8005001A
	s_add_u32 m0, 0x300, s50                                   // 000000003E1C: 807C32FF 00000300
	v_mfma_f32_16x16x32_fp8_fp8 v[132:135], a[8:9], v[208:209], v[132:135]// 000000003E24: D3F30084 0E13A108
	v_mfma_f32_16x16x32_fp8_fp8 v[132:135], a[10:11], v[210:211], v[132:135]// 000000003E2C: D3F30084 0E13A50A
	buffer_load_dwordx4 a[60:63], v32, s[92:95], 0 offen offset:3072// 000000003E34: E05C1C00 80973C20
	v_mfma_f32_16x16x32_fp8_fp8 v[132:135], a[12:13], v[212:213], v[132:135]// 000000003E3C: D3F30084 0E13A90C
	v_mfma_f32_16x16x32_fp8_fp8 v[132:135], a[14:15], v[214:215], v[132:135]// 000000003E44: D3F30084 0E13AD0E
	buffer_load_dword v27, s[20:23], 0 offen lds               // 000000003E4C: E0511000 8005001B
	s_add_u32 m0, 0x400, s50                                   // 000000003E54: 807C32FF 00000400
	v_mfma_f32_16x16x32_fp8_fp8 v[136:139], a[16:17], v[184:185], v[136:139]// 000000003E5C: D3F30088 0E237110
	v_mfma_f32_16x16x32_fp8_fp8 v[136:139], a[18:19], v[186:187], v[136:139]// 000000003E64: D3F30088 0E237512
	buffer_load_dwordx4 a[64:67], v33, s[92:95], 0 offen       // 000000003E6C: E05C1000 80974021
	v_mfma_f32_16x16x32_fp8_fp8 v[136:139], a[20:21], v[188:189], v[136:139]// 000000003E74: D3F30088 0E237914
	v_mfma_f32_16x16x32_fp8_fp8 v[136:139], a[22:23], v[190:191], v[136:139]// 000000003E7C: D3F30088 0E237D16
	buffer_load_dword v28, s[20:23], 0 offen lds               // 000000003E84: E0511000 8005001C
	s_add_u32 m0, 0x500, s50                                   // 000000003E8C: 807C32FF 00000500
	v_mfma_f32_16x16x32_fp8_fp8 v[136:139], a[24:25], v[192:193], v[136:139]// 000000003E94: D3F30088 0E238118
	v_mfma_f32_16x16x32_fp8_fp8 v[136:139], a[26:27], v[194:195], v[136:139]// 000000003E9C: D3F30088 0E23851A
	buffer_load_dwordx4 a[68:71], v33, s[92:95], 0 offen offset:1024// 000000003EA4: E05C1400 80974421
	v_mfma_f32_16x16x32_fp8_fp8 v[136:139], a[28:29], v[196:197], v[136:139]// 000000003EAC: D3F30088 0E23891C
	v_mfma_f32_16x16x32_fp8_fp8 v[136:139], a[30:31], v[198:199], v[136:139]// 000000003EB4: D3F30088 0E238D1E
	buffer_load_dword v29, s[20:23], 0 offen lds               // 000000003EBC: E0511000 8005001D
	s_add_u32 m0, 0x600, s50                                   // 000000003EC4: 807C32FF 00000600
	v_mfma_f32_16x16x32_fp8_fp8 v[140:143], a[16:17], v[200:201], v[140:143]// 000000003ECC: D3F3008C 0E339110
	v_mfma_f32_16x16x32_fp8_fp8 v[140:143], a[18:19], v[202:203], v[140:143]// 000000003ED4: D3F3008C 0E339512
	buffer_load_dwordx4 a[72:75], v33, s[92:95], 0 offen offset:2048// 000000003EDC: E05C1800 80974821
	v_mfma_f32_16x16x32_fp8_fp8 v[140:143], a[20:21], v[204:205], v[140:143]// 000000003EE4: D3F3008C 0E339914
	v_mfma_f32_16x16x32_fp8_fp8 v[140:143], a[22:23], v[206:207], v[140:143]// 000000003EEC: D3F3008C 0E339D16
	buffer_load_dword v30, s[20:23], 0 offen lds               // 000000003EF4: E0511000 8005001E
	s_add_u32 m0, 0x700, s50                                   // 000000003EFC: 807C32FF 00000700
	v_mfma_f32_16x16x32_fp8_fp8 v[140:143], a[24:25], v[208:209], v[140:143]// 000000003F04: D3F3008C 0E33A118
	v_mfma_f32_16x16x32_fp8_fp8 v[140:143], a[26:27], v[210:211], v[140:143]// 000000003F0C: D3F3008C 0E33A51A
	buffer_load_dwordx4 a[76:79], v33, s[92:95], 0 offen offset:3072// 000000003F14: E05C1C00 80974C21
	v_mfma_f32_16x16x32_fp8_fp8 v[140:143], a[28:29], v[212:213], v[140:143]// 000000003F1C: D3F3008C 0E33A91C
	v_mfma_f32_16x16x32_fp8_fp8 v[140:143], a[30:31], v[214:215], v[140:143]// 000000003F24: D3F3008C 0E33AD1E
	buffer_load_dword v31, s[20:23], 0 offen lds               // 000000003F2C: E0511000 8005001F
	s_add_u32 m0, 0, s51                                       // 000000003F34: 807C3380
	s_waitcnt vmcnt(16)                                        // 000000003F38: BF8C4F70
	v_mfma_f32_16x16x32_fp8_fp8 v[144:147], a[32:33], v[184:185], v[144:147]// 000000003F3C: D3F30090 0E437120
	v_mfma_f32_16x16x32_fp8_fp8 v[144:147], a[34:35], v[186:187], v[144:147]// 000000003F44: D3F30090 0E437522
	buffer_load_dwordx4 a[80:83], v34, s[92:95], 0 offen       // 000000003F4C: E05C1000 80975022
	v_mfma_f32_16x16x32_fp8_fp8 v[144:147], a[36:37], v[188:189], v[144:147]// 000000003F54: D3F30090 0E437924
	v_mfma_f32_16x16x32_fp8_fp8 v[144:147], a[38:39], v[190:191], v[144:147]// 000000003F5C: D3F30090 0E437D26
	v_mfma_f32_16x16x32_fp8_fp8 v[144:147], a[40:41], v[192:193], v[144:147]// 000000003F64: D3F30090 0E438128
	v_mfma_f32_16x16x32_fp8_fp8 v[144:147], a[42:43], v[194:195], v[144:147]// 000000003F6C: D3F30090 0E43852A
	buffer_load_dwordx4 a[84:87], v34, s[92:95], 0 offen offset:1024// 000000003F74: E05C1400 80975422
	v_mfma_f32_16x16x32_fp8_fp8 v[144:147], a[44:45], v[196:197], v[144:147]// 000000003F7C: D3F30090 0E43892C
	v_mfma_f32_16x16x32_fp8_fp8 v[144:147], a[46:47], v[198:199], v[144:147]// 000000003F84: D3F30090 0E438D2E
	v_mfma_f32_16x16x32_fp8_fp8 v[148:151], a[32:33], v[200:201], v[148:151]// 000000003F8C: D3F30094 0E539120
	v_mfma_f32_16x16x32_fp8_fp8 v[148:151], a[34:35], v[202:203], v[148:151]// 000000003F94: D3F30094 0E539522
	buffer_load_dwordx4 a[88:91], v34, s[92:95], 0 offen offset:2048// 000000003F9C: E05C1800 80975822
	v_mfma_f32_16x16x32_fp8_fp8 v[148:151], a[36:37], v[204:205], v[148:151]// 000000003FA4: D3F30094 0E539924
	v_mfma_f32_16x16x32_fp8_fp8 v[148:151], a[38:39], v[206:207], v[148:151]// 000000003FAC: D3F30094 0E539D26
	v_mfma_f32_16x16x32_fp8_fp8 v[148:151], a[40:41], v[208:209], v[148:151]// 000000003FB4: D3F30094 0E53A128
	v_mfma_f32_16x16x32_fp8_fp8 v[148:151], a[42:43], v[210:211], v[148:151]// 000000003FBC: D3F30094 0E53A52A
	buffer_load_dwordx4 a[92:95], v34, s[92:95], 0 offen offset:3072// 000000003FC4: E05C1C00 80975C22
	v_mfma_f32_16x16x32_fp8_fp8 v[148:151], a[44:45], v[212:213], v[148:151]// 000000003FCC: D3F30094 0E53A92C
	v_mfma_f32_16x16x32_fp8_fp8 v[148:151], a[46:47], v[214:215], v[148:151]// 000000003FD4: D3F30094 0E53AD2E
	s_waitcnt vmcnt(4)                                         // 000000003FDC: BF8C0F74
	s_barrier                                                  // 000000003FE0: BF8A0000
	v_mfma_f32_16x16x32_fp8_fp8 v[64:67], a[48:49], v[184:185], v[64:67]// 000000003FE4: D3F30040 0D037130
	v_mfma_f32_16x16x32_fp8_fp8 v[64:67], a[50:51], v[186:187], v[64:67]// 000000003FEC: D3F30040 0D037532
	buffer_load_dwordx4 a[0:3], v32, s[24:27], 0 offen         // 000000003FF4: E05C1000 80860020
	v_mfma_f32_16x16x32_fp8_fp8 v[64:67], a[52:53], v[188:189], v[64:67]// 000000003FFC: D3F30040 0D037934
	v_mfma_f32_16x16x32_fp8_fp8 v[64:67], a[54:55], v[190:191], v[64:67]// 000000004004: D3F30040 0D037D36
	v_mfma_f32_16x16x32_fp8_fp8 v[64:67], a[56:57], v[192:193], v[64:67]// 00000000400C: D3F30040 0D038138
	v_mfma_f32_16x16x32_fp8_fp8 v[64:67], a[58:59], v[194:195], v[64:67]// 000000004014: D3F30040 0D03853A
	buffer_load_dwordx4 a[4:7], v32, s[24:27], 0 offen offset:1024// 00000000401C: E05C1400 80860420
	v_mfma_f32_16x16x32_fp8_fp8 v[64:67], a[60:61], v[196:197], v[64:67]// 000000004024: D3F30040 0D03893C
	v_mfma_f32_16x16x32_fp8_fp8 v[64:67], a[62:63], v[198:199], v[64:67]// 00000000402C: D3F30040 0D038D3E
	v_mfma_f32_16x16x32_fp8_fp8 v[68:71], a[48:49], v[200:201], v[68:71]// 000000004034: D3F30044 0D139130
	v_mfma_f32_16x16x32_fp8_fp8 v[68:71], a[50:51], v[202:203], v[68:71]// 00000000403C: D3F30044 0D139532
	buffer_load_dwordx4 a[8:11], v32, s[24:27], 0 offen offset:2048// 000000004044: E05C1800 80860820
	v_mfma_f32_16x16x32_fp8_fp8 v[68:71], a[52:53], v[204:205], v[68:71]// 00000000404C: D3F30044 0D139934
	v_mfma_f32_16x16x32_fp8_fp8 v[68:71], a[54:55], v[206:207], v[68:71]// 000000004054: D3F30044 0D139D36
	v_mfma_f32_16x16x32_fp8_fp8 v[68:71], a[56:57], v[208:209], v[68:71]// 00000000405C: D3F30044 0D13A138
	v_mfma_f32_16x16x32_fp8_fp8 v[68:71], a[58:59], v[210:211], v[68:71]// 000000004064: D3F30044 0D13A53A
	buffer_load_dwordx4 a[12:15], v32, s[24:27], 0 offen offset:3072// 00000000406C: E05C1C00 80860C20
	v_mfma_f32_16x16x32_fp8_fp8 v[68:71], a[60:61], v[212:213], v[68:71]// 000000004074: D3F30044 0D13A93C
	v_mfma_f32_16x16x32_fp8_fp8 v[68:71], a[62:63], v[214:215], v[68:71]// 00000000407C: D3F30044 0D13AD3E
	v_mfma_f32_16x16x32_fp8_fp8 v[72:75], a[64:65], v[184:185], v[72:75]// 000000004084: D3F30048 0D237140
	v_mfma_f32_16x16x32_fp8_fp8 v[72:75], a[66:67], v[186:187], v[72:75]// 00000000408C: D3F30048 0D237542
	buffer_load_dwordx4 a[16:19], v33, s[24:27], 0 offen       // 000000004094: E05C1000 80861021
	v_mfma_f32_16x16x32_fp8_fp8 v[72:75], a[68:69], v[188:189], v[72:75]// 00000000409C: D3F30048 0D237944
	v_mfma_f32_16x16x32_fp8_fp8 v[72:75], a[70:71], v[190:191], v[72:75]// 0000000040A4: D3F30048 0D237D46
	ds_read_b128 v[152:155], v2                                // 0000000040AC: D9FE0000 98000002
	v_mfma_f32_16x16x32_fp8_fp8 v[72:75], a[72:73], v[192:193], v[72:75]// 0000000040B4: D3F30048 0D238148
	v_mfma_f32_16x16x32_fp8_fp8 v[72:75], a[74:75], v[194:195], v[72:75]// 0000000040BC: D3F30048 0D23854A
	buffer_load_dwordx4 a[20:23], v33, s[24:27], 0 offen offset:1024// 0000000040C4: E05C1400 80861421
	v_mfma_f32_16x16x32_fp8_fp8 v[72:75], a[76:77], v[196:197], v[72:75]// 0000000040CC: D3F30048 0D23894C
	v_mfma_f32_16x16x32_fp8_fp8 v[72:75], a[78:79], v[198:199], v[72:75]// 0000000040D4: D3F30048 0D238D4E
	ds_read_b128 v[156:159], v2 offset:64                      // 0000000040DC: D9FE0040 9C000002
	v_mfma_f32_16x16x32_fp8_fp8 v[76:79], a[64:65], v[200:201], v[76:79]// 0000000040E4: D3F3004C 0D339140
	v_mfma_f32_16x16x32_fp8_fp8 v[76:79], a[66:67], v[202:203], v[76:79]// 0000000040EC: D3F3004C 0D339542
	buffer_load_dwordx4 a[24:27], v33, s[24:27], 0 offen offset:2048// 0000000040F4: E05C1800 80861821
	v_mfma_f32_16x16x32_fp8_fp8 v[76:79], a[68:69], v[204:205], v[76:79]// 0000000040FC: D3F3004C 0D339944
	v_mfma_f32_16x16x32_fp8_fp8 v[76:79], a[70:71], v[206:207], v[76:79]// 000000004104: D3F3004C 0D339D46
	ds_read_b128 v[160:163], v2 offset:128                     // 00000000410C: D9FE0080 A0000002
	v_mfma_f32_16x16x32_fp8_fp8 v[76:79], a[72:73], v[208:209], v[76:79]// 000000004114: D3F3004C 0D33A148
	v_mfma_f32_16x16x32_fp8_fp8 v[76:79], a[74:75], v[210:211], v[76:79]// 00000000411C: D3F3004C 0D33A54A
	buffer_load_dwordx4 a[28:31], v33, s[24:27], 0 offen offset:3072// 000000004124: E05C1C00 80861C21
	v_mfma_f32_16x16x32_fp8_fp8 v[76:79], a[76:77], v[212:213], v[76:79]// 00000000412C: D3F3004C 0D33A94C
	v_mfma_f32_16x16x32_fp8_fp8 v[76:79], a[78:79], v[214:215], v[76:79]// 000000004134: D3F3004C 0D33AD4E
	ds_read_b128 v[164:167], v2 offset:192                     // 00000000413C: D9FE00C0 A4000002
	s_waitcnt vmcnt(8)                                         // 000000004144: BF8C0F78
	v_mfma_f32_16x16x32_fp8_fp8 v[80:83], a[80:81], v[184:185], v[80:83]// 000000004148: D3F30050 0D437150
	v_mfma_f32_16x16x32_fp8_fp8 v[80:83], a[82:83], v[186:187], v[80:83]// 000000004150: D3F30050 0D437552
	buffer_load_dwordx4 a[32:35], v34, s[24:27], 0 offen       // 000000004158: E05C1000 80862022
	v_mfma_f32_16x16x32_fp8_fp8 v[80:83], a[84:85], v[188:189], v[80:83]// 000000004160: D3F30050 0D437954
	v_mfma_f32_16x16x32_fp8_fp8 v[80:83], a[86:87], v[190:191], v[80:83]// 000000004168: D3F30050 0D437D56
	ds_read_b128 v[168:171], v2 offset:1024                    // 000000004170: D9FE0400 A8000002
	v_mfma_f32_16x16x32_fp8_fp8 v[80:83], a[88:89], v[192:193], v[80:83]// 000000004178: D3F30050 0D438158
	v_mfma_f32_16x16x32_fp8_fp8 v[80:83], a[90:91], v[194:195], v[80:83]// 000000004180: D3F30050 0D43855A
	buffer_load_dwordx4 a[36:39], v34, s[24:27], 0 offen offset:1024// 000000004188: E05C1400 80862422
	v_mfma_f32_16x16x32_fp8_fp8 v[80:83], a[92:93], v[196:197], v[80:83]// 000000004190: D3F30050 0D43895C
	v_mfma_f32_16x16x32_fp8_fp8 v[80:83], a[94:95], v[198:199], v[80:83]// 000000004198: D3F30050 0D438D5E
	ds_read_b128 v[172:175], v2 offset:1088                    // 0000000041A0: D9FE0440 AC000002
	v_mfma_f32_16x16x32_fp8_fp8 v[84:87], a[80:81], v[200:201], v[84:87]// 0000000041A8: D3F30054 0D539150
	v_mfma_f32_16x16x32_fp8_fp8 v[84:87], a[82:83], v[202:203], v[84:87]// 0000000041B0: D3F30054 0D539552
	buffer_load_dwordx4 a[40:43], v34, s[24:27], 0 offen offset:2048// 0000000041B8: E05C1800 80862822
	v_mfma_f32_16x16x32_fp8_fp8 v[84:87], a[84:85], v[204:205], v[84:87]// 0000000041C0: D3F30054 0D539954
	v_mfma_f32_16x16x32_fp8_fp8 v[84:87], a[86:87], v[206:207], v[84:87]// 0000000041C8: D3F30054 0D539D56
	ds_read_b128 v[176:179], v2 offset:1152                    // 0000000041D0: D9FE0480 B0000002
	v_mfma_f32_16x16x32_fp8_fp8 v[84:87], a[88:89], v[208:209], v[84:87]// 0000000041D8: D3F30054 0D53A158
	v_mfma_f32_16x16x32_fp8_fp8 v[84:87], a[90:91], v[210:211], v[84:87]// 0000000041E0: D3F30054 0D53A55A
	buffer_load_dwordx4 a[44:47], v34, s[24:27], 0 offen offset:3072// 0000000041E8: E05C1C00 80862C22
	v_mfma_f32_16x16x32_fp8_fp8 v[84:87], a[92:93], v[212:213], v[84:87]// 0000000041F0: D3F30054 0D53A95C
	v_mfma_f32_16x16x32_fp8_fp8 v[84:87], a[94:95], v[214:215], v[84:87]// 0000000041F8: D3F30054 0D53AD5E
	ds_read_b128 v[180:183], v2 offset:1216                    // 000000004200: D9FE04C0 B4000002
	s_add_u32 s60, 0x200, s80                                  // 000000004208: 803C50FF 00000200
	s_cmp_lt_u32 s60, s81                                      // 000000004210: BF0A513C
	s_cselect_b32 s57, s57, 0                                  // 000000004214: 85398039
	s_add_u32 s60, 0x200, s80                                  // 000000004218: 803C50FF 00000200
	s_cmp_lt_u32 s60, s81                                      // 000000004220: BF0A513C
	s_cselect_b32 s58, s58, 0                                  // 000000004224: 853A803A
	s_add_u32 s20, s57, s20                                    // 000000004228: 80141439
	s_addc_u32 s21, 0, s21                                     // 00000000422C: 82151580
	s_add_u32 s24, s58, s24                                    // 000000004230: 8018183A
	s_addc_u32 s25, 0, s25                                     // 000000004234: 82191980
	s_add_u32 s92, s90, s92                                    // 000000004238: 805C5C5A
	s_addc_u32 s93, 0, s93                                     // 00000000423C: 825D5D80
	s_addk_i32 s80, 0x100                                      // 000000004240: B7500100
	s_cmp_lt_i32 s80, s81                                      // 000000004244: BF045150
	s_cbranch_scc0 label_0514                                  // 000000004248: BF840001
	s_branch label_02A7                                        // 00000000424C: BF82FD93

0000000000004250 <label_0514>:
	s_mov_b32 s36, -1                                          // 000000004250: BEA400C1
	s_mov_b32 s37, -1                                          // 000000004254: BEA500C1
	s_mov_b64 s[60:61], 0                                      // 000000004258: BEBC0180
	s_cmp_lt_u32 s82, s66                                      // 00000000425C: BF0A4252
	s_cselect_b64 s[20:21], s[36:37], s[60:61]                 // 000000004260: 85943C24
	s_cmp_lt_u32 s83, s66                                      // 000000004264: BF0A4253
	s_cselect_b64 s[22:23], s[36:37], s[60:61]                 // 000000004268: 85963C24
	s_cmp_lt_u32 s84, s66                                      // 00000000426C: BF0A4254
	s_cselect_b64 s[24:25], s[36:37], s[60:61]                 // 000000004270: 85983C24
	s_cmp_lt_u32 s85, s66                                      // 000000004274: BF0A4255
	s_cselect_b64 s[26:27], s[36:37], s[60:61]                 // 000000004278: 859A3C24
	s_cmp_lt_u32 s86, s66                                      // 00000000427C: BF0A4256
	s_cselect_b64 s[28:29], s[36:37], s[60:61]                 // 000000004280: 859C3C24
	s_cmp_lt_u32 s87, s66                                      // 000000004284: BF0A4257
	s_cselect_b64 s[30:31], s[36:37], s[60:61]                 // 000000004288: 859E3C24
	s_cmp_lt_u32 s88, s66                                      // 00000000428C: BF0A4258
	s_cselect_b64 s[32:33], s[36:37], s[60:61]                 // 000000004290: 85A03C24
	s_cmp_lt_u32 s89, s66                                      // 000000004294: BF0A4259
	s_cselect_b64 s[34:35], s[36:37], s[60:61]                 // 000000004298: 85A23C24
	v_mul_f32_e32 v128, v13, v128                              // 00000000429C: 0B01010D
	v_mul_f32_e32 v129, v13, v129                              // 0000000042A0: 0B03030D
	v_mul_f32_e32 v130, v13, v130                              // 0000000042A4: 0B05050D
	v_mul_f32_e32 v131, v13, v131                              // 0000000042A8: 0B07070D
	v_mul_f32_dpp v128, v15, v128 row_newbcast:0 row_mask:0xf bank_mask:0xf// 0000000042AC: 0B0100FA FF01500F
	v_mul_f32_dpp v129, v15, v129 row_newbcast:1 row_mask:0xf bank_mask:0xf// 0000000042B4: 0B0302FA FF01510F
	v_mul_f32_dpp v130, v15, v130 row_newbcast:2 row_mask:0xf bank_mask:0xf// 0000000042BC: 0B0504FA FF01520F
	v_mul_f32_dpp v131, v15, v131 row_newbcast:3 row_mask:0xf bank_mask:0xf// 0000000042C4: 0B0706FA FF01530F
	v_mul_f32_e32 v132, v14, v132                              // 0000000042CC: 0B09090E
	v_mul_f32_e32 v133, v14, v133                              // 0000000042D0: 0B0B0B0E
	v_mul_f32_e32 v134, v14, v134                              // 0000000042D4: 0B0D0D0E
	v_mul_f32_e32 v135, v14, v135                              // 0000000042D8: 0B0F0F0E
	v_mul_f32_dpp v132, v15, v132 row_newbcast:0 row_mask:0xf bank_mask:0xf// 0000000042DC: 0B0908FA FF01500F
	v_mul_f32_dpp v133, v15, v133 row_newbcast:1 row_mask:0xf bank_mask:0xf// 0000000042E4: 0B0B0AFA FF01510F
	v_mul_f32_dpp v134, v15, v134 row_newbcast:2 row_mask:0xf bank_mask:0xf// 0000000042EC: 0B0D0CFA FF01520F
	v_mul_f32_dpp v135, v15, v135 row_newbcast:3 row_mask:0xf bank_mask:0xf// 0000000042F4: 0B0F0EFA FF01530F
	v_mul_f32_e32 v136, v13, v136                              // 0000000042FC: 0B11110D
	v_mul_f32_e32 v137, v13, v137                              // 000000004300: 0B13130D
	v_mul_f32_e32 v138, v13, v138                              // 000000004304: 0B15150D
	v_mul_f32_e32 v139, v13, v139                              // 000000004308: 0B17170D
	v_mul_f32_dpp v136, v15, v136 row_newbcast:4 row_mask:0xf bank_mask:0xf// 00000000430C: 0B1110FA FF01540F
	v_mul_f32_dpp v137, v15, v137 row_newbcast:5 row_mask:0xf bank_mask:0xf// 000000004314: 0B1312FA FF01550F
	v_mul_f32_dpp v138, v15, v138 row_newbcast:6 row_mask:0xf bank_mask:0xf// 00000000431C: 0B1514FA FF01560F
	v_mul_f32_dpp v139, v15, v139 row_newbcast:7 row_mask:0xf bank_mask:0xf// 000000004324: 0B1716FA FF01570F
	v_mul_f32_e32 v140, v14, v140                              // 00000000432C: 0B19190E
	v_mul_f32_e32 v141, v14, v141                              // 000000004330: 0B1B1B0E
	v_mul_f32_e32 v142, v14, v142                              // 000000004334: 0B1D1D0E
	v_mul_f32_e32 v143, v14, v143                              // 000000004338: 0B1F1F0E
	v_mul_f32_dpp v140, v15, v140 row_newbcast:4 row_mask:0xf bank_mask:0xf// 00000000433C: 0B1918FA FF01540F
	v_mul_f32_dpp v141, v15, v141 row_newbcast:5 row_mask:0xf bank_mask:0xf// 000000004344: 0B1B1AFA FF01550F
	v_mul_f32_dpp v142, v15, v142 row_newbcast:6 row_mask:0xf bank_mask:0xf// 00000000434C: 0B1D1CFA FF01560F
	v_mul_f32_dpp v143, v15, v143 row_newbcast:7 row_mask:0xf bank_mask:0xf// 000000004354: 0B1F1EFA FF01570F
	v_mul_f32_e32 v144, v13, v144                              // 00000000435C: 0B21210D
	v_mul_f32_e32 v145, v13, v145                              // 000000004360: 0B23230D
	v_mul_f32_e32 v146, v13, v146                              // 000000004364: 0B25250D
	v_mul_f32_e32 v147, v13, v147                              // 000000004368: 0B27270D
	v_mul_f32_dpp v144, v15, v144 row_newbcast:8 row_mask:0xf bank_mask:0xf// 00000000436C: 0B2120FA FF01580F
	v_mul_f32_dpp v145, v15, v145 row_newbcast:9 row_mask:0xf bank_mask:0xf// 000000004374: 0B2322FA FF01590F
	v_mul_f32_dpp v146, v15, v146 row_newbcast:10 row_mask:0xf bank_mask:0xf// 00000000437C: 0B2524FA FF015A0F
	v_mul_f32_dpp v147, v15, v147 row_newbcast:11 row_mask:0xf bank_mask:0xf// 000000004384: 0B2726FA FF015B0F
	v_mul_f32_e32 v148, v14, v148                              // 00000000438C: 0B29290E
	v_mul_f32_e32 v149, v14, v149                              // 000000004390: 0B2B2B0E
	v_mul_f32_e32 v150, v14, v150                              // 000000004394: 0B2D2D0E
	v_mul_f32_e32 v151, v14, v151                              // 000000004398: 0B2F2F0E
	v_mul_f32_dpp v148, v15, v148 row_newbcast:8 row_mask:0xf bank_mask:0xf// 00000000439C: 0B2928FA FF01580F
	v_mul_f32_dpp v149, v15, v149 row_newbcast:9 row_mask:0xf bank_mask:0xf// 0000000043A4: 0B2B2AFA FF01590F
	v_mul_f32_dpp v150, v15, v150 row_newbcast:10 row_mask:0xf bank_mask:0xf// 0000000043AC: 0B2D2CFA FF015A0F
	v_mul_f32_dpp v151, v15, v151 row_newbcast:11 row_mask:0xf bank_mask:0xf// 0000000043B4: 0B2F2EFA FF015B0F
	v_mul_f32_e32 v64, v13, v64                                // 0000000043BC: 0A80810D
	v_mul_f32_e32 v65, v13, v65                                // 0000000043C0: 0A82830D
	v_mul_f32_e32 v66, v13, v66                                // 0000000043C4: 0A84850D
	v_mul_f32_e32 v67, v13, v67                                // 0000000043C8: 0A86870D
	v_mul_f32_dpp v64, v43, v64 row_newbcast:0 row_mask:0xf bank_mask:0xf// 0000000043CC: 0A8080FA FF01502B
	v_mul_f32_dpp v65, v43, v65 row_newbcast:1 row_mask:0xf bank_mask:0xf// 0000000043D4: 0A8282FA FF01512B
	v_mul_f32_dpp v66, v43, v66 row_newbcast:2 row_mask:0xf bank_mask:0xf// 0000000043DC: 0A8484FA FF01522B
	v_mul_f32_dpp v67, v43, v67 row_newbcast:3 row_mask:0xf bank_mask:0xf// 0000000043E4: 0A8686FA FF01532B
	v_mul_f32_e32 v68, v14, v68                                // 0000000043EC: 0A88890E
	v_mul_f32_e32 v69, v14, v69                                // 0000000043F0: 0A8A8B0E
	v_mul_f32_e32 v70, v14, v70                                // 0000000043F4: 0A8C8D0E
	v_mul_f32_e32 v71, v14, v71                                // 0000000043F8: 0A8E8F0E
	v_mul_f32_dpp v68, v43, v68 row_newbcast:0 row_mask:0xf bank_mask:0xf// 0000000043FC: 0A8888FA FF01502B
	v_mul_f32_dpp v69, v43, v69 row_newbcast:1 row_mask:0xf bank_mask:0xf// 000000004404: 0A8A8AFA FF01512B
	v_mul_f32_dpp v70, v43, v70 row_newbcast:2 row_mask:0xf bank_mask:0xf// 00000000440C: 0A8C8CFA FF01522B
	v_mul_f32_dpp v71, v43, v71 row_newbcast:3 row_mask:0xf bank_mask:0xf// 000000004414: 0A8E8EFA FF01532B
	v_mul_f32_e32 v72, v13, v72                                // 00000000441C: 0A90910D
	v_mul_f32_e32 v73, v13, v73                                // 000000004420: 0A92930D
	v_mul_f32_e32 v74, v13, v74                                // 000000004424: 0A94950D
	v_mul_f32_e32 v75, v13, v75                                // 000000004428: 0A96970D
	v_mul_f32_dpp v72, v43, v72 row_newbcast:4 row_mask:0xf bank_mask:0xf// 00000000442C: 0A9090FA FF01542B
	v_mul_f32_dpp v73, v43, v73 row_newbcast:5 row_mask:0xf bank_mask:0xf// 000000004434: 0A9292FA FF01552B
	v_mul_f32_dpp v74, v43, v74 row_newbcast:6 row_mask:0xf bank_mask:0xf// 00000000443C: 0A9494FA FF01562B
	v_mul_f32_dpp v75, v43, v75 row_newbcast:7 row_mask:0xf bank_mask:0xf// 000000004444: 0A9696FA FF01572B
	v_mul_f32_e32 v76, v14, v76                                // 00000000444C: 0A98990E
	v_mul_f32_e32 v77, v14, v77                                // 000000004450: 0A9A9B0E
	v_mul_f32_e32 v78, v14, v78                                // 000000004454: 0A9C9D0E
	v_mul_f32_e32 v79, v14, v79                                // 000000004458: 0A9E9F0E
	v_mul_f32_dpp v76, v43, v76 row_newbcast:4 row_mask:0xf bank_mask:0xf// 00000000445C: 0A9898FA FF01542B
	v_mul_f32_dpp v77, v43, v77 row_newbcast:5 row_mask:0xf bank_mask:0xf// 000000004464: 0A9A9AFA FF01552B
	v_mul_f32_dpp v78, v43, v78 row_newbcast:6 row_mask:0xf bank_mask:0xf// 00000000446C: 0A9C9CFA FF01562B
	v_mul_f32_dpp v79, v43, v79 row_newbcast:7 row_mask:0xf bank_mask:0xf// 000000004474: 0A9E9EFA FF01572B
	v_mul_f32_e32 v80, v13, v80                                // 00000000447C: 0AA0A10D
	v_mul_f32_e32 v81, v13, v81                                // 000000004480: 0AA2A30D
	v_mul_f32_e32 v82, v13, v82                                // 000000004484: 0AA4A50D
	v_mul_f32_e32 v83, v13, v83                                // 000000004488: 0AA6A70D
	v_mul_f32_dpp v80, v43, v80 row_newbcast:8 row_mask:0xf bank_mask:0xf// 00000000448C: 0AA0A0FA FF01582B
	v_mul_f32_dpp v81, v43, v81 row_newbcast:9 row_mask:0xf bank_mask:0xf// 000000004494: 0AA2A2FA FF01592B
	v_mul_f32_dpp v82, v43, v82 row_newbcast:10 row_mask:0xf bank_mask:0xf// 00000000449C: 0AA4A4FA FF015A2B
	v_mul_f32_dpp v83, v43, v83 row_newbcast:11 row_mask:0xf bank_mask:0xf// 0000000044A4: 0AA6A6FA FF015B2B
	v_mul_f32_e32 v84, v14, v84                                // 0000000044AC: 0AA8A90E
	v_mul_f32_e32 v85, v14, v85                                // 0000000044B0: 0AAAAB0E
	v_mul_f32_e32 v86, v14, v86                                // 0000000044B4: 0AACAD0E
	v_mul_f32_e32 v87, v14, v87                                // 0000000044B8: 0AAEAF0E
	v_mul_f32_dpp v84, v43, v84 row_newbcast:8 row_mask:0xf bank_mask:0xf// 0000000044BC: 0AA8A8FA FF01582B
	v_mul_f32_dpp v85, v43, v85 row_newbcast:9 row_mask:0xf bank_mask:0xf// 0000000044C4: 0AAAAAFA FF01592B
	v_mul_f32_dpp v86, v43, v86 row_newbcast:10 row_mask:0xf bank_mask:0xf// 0000000044CC: 0AACACFA FF015A2B
	v_mul_f32_dpp v87, v43, v87 row_newbcast:11 row_mask:0xf bank_mask:0xf// 0000000044D4: 0AAEAEFA FF015B2B
	s_waitcnt vmcnt(8)                                         // 0000000044DC: BF8C0F78
	buffer_load_dwordx4 a[0:3], v35, s[12:15], 0 offen         // 0000000044E0: E05C1000 80830023
	v_mul_f32_e64 v44, -v128, s6                               // 0000000044E8: D105002C 20000D80
	v_mul_f32_e64 v45, -v129, s6                               // 0000000044F0: D105002D 20000D81
	v_mul_f32_e64 v46, -v130, s6                               // 0000000044F8: D105002E 20000D82
	v_mul_f32_e64 v47, -v131, s6                               // 000000004500: D105002F 20000D83
	v_exp_f32_e32 v44, v44                                     // 000000004508: 7E58412C
	v_exp_f32_e32 v45, v45                                     // 00000000450C: 7E5A412D
	v_exp_f32_e32 v46, v46                                     // 000000004510: 7E5C412E
	v_exp_f32_e32 v47, v47                                     // 000000004514: 7E5E412F
	buffer_load_dwordx4 a[4:7], v36, s[12:15], 0 offen         // 000000004518: E05C1000 80830424
	v_add_f32_e64 v44, v44, 1.0                                // 000000004520: D101002C 0001E52C
	v_add_f32_e64 v45, v45, 1.0                                // 000000004528: D101002D 0001E52D
	v_add_f32_e64 v46, v46, 1.0                                // 000000004530: D101002E 0001E52E
	v_add_f32_e64 v47, v47, 1.0                                // 000000004538: D101002F 0001E52F
	v_rcp_f32_e32 v44, v44                                     // 000000004540: 7E58452C
	v_rcp_f32_e32 v45, v45                                     // 000000004544: 7E5A452D
	v_rcp_f32_e32 v46, v46                                     // 000000004548: 7E5C452E
	v_rcp_f32_e32 v47, v47                                     // 00000000454C: 7E5E452F
	v_mul_f32_e32 v128, v128, v44                              // 000000004550: 0B005980
	v_mul_f32_e32 v129, v129, v45                              // 000000004554: 0B025B81
	v_mul_f32_e32 v130, v130, v46                              // 000000004558: 0B045D82
	v_mul_f32_e32 v131, v131, v47                              // 00000000455C: 0B065F83
	v_mul_f32_e32 v128, v128, v64                              // 000000004560: 0B008180
	v_mul_f32_e32 v129, v129, v65                              // 000000004564: 0B028381
	v_mul_f32_e32 v130, v130, v66                              // 000000004568: 0B048582
	v_mul_f32_e32 v131, v131, v67                              // 00000000456C: 0B068783
	buffer_load_dwordx4 a[8:11], v37, s[12:15], 0 offen        // 000000004570: E05C1000 80830825
	v_mul_f32_e64 v44, -v132, s6                               // 000000004578: D105002C 20000D84
	v_mul_f32_e64 v45, -v133, s6                               // 000000004580: D105002D 20000D85
	v_mul_f32_e64 v46, -v134, s6                               // 000000004588: D105002E 20000D86
	v_mul_f32_e64 v47, -v135, s6                               // 000000004590: D105002F 20000D87
	v_exp_f32_e32 v44, v44                                     // 000000004598: 7E58412C
	v_exp_f32_e32 v45, v45                                     // 00000000459C: 7E5A412D
	v_exp_f32_e32 v46, v46                                     // 0000000045A0: 7E5C412E
	v_exp_f32_e32 v47, v47                                     // 0000000045A4: 7E5E412F
	buffer_load_dwordx4 a[12:15], v38, s[12:15], 0 offen       // 0000000045A8: E05C1000 80830C26
	s_add_u32 s12, s78, s12                                    // 0000000045B0: 800C0C4E
	s_addc_u32 s13, 0, s13                                     // 0000000045B4: 820D0D80
	v_add_f32_e64 v44, v44, 1.0                                // 0000000045B8: D101002C 0001E52C
	v_add_f32_e64 v45, v45, 1.0                                // 0000000045C0: D101002D 0001E52D
	v_add_f32_e64 v46, v46, 1.0                                // 0000000045C8: D101002E 0001E52E
	v_add_f32_e64 v47, v47, 1.0                                // 0000000045D0: D101002F 0001E52F
	v_rcp_f32_e32 v44, v44                                     // 0000000045D8: 7E58452C
	v_rcp_f32_e32 v45, v45                                     // 0000000045DC: 7E5A452D
	v_rcp_f32_e32 v46, v46                                     // 0000000045E0: 7E5C452E
	v_rcp_f32_e32 v47, v47                                     // 0000000045E4: 7E5E452F
	v_mul_f32_e32 v132, v132, v44                              // 0000000045E8: 0B085984
	v_mul_f32_e32 v133, v133, v45                              // 0000000045EC: 0B0A5B85
	v_mul_f32_e32 v134, v134, v46                              // 0000000045F0: 0B0C5D86
	v_mul_f32_e32 v135, v135, v47                              // 0000000045F4: 0B0E5F87
	v_mul_f32_e32 v132, v132, v68                              // 0000000045F8: 0B088984
	v_mul_f32_e32 v133, v133, v69                              // 0000000045FC: 0B0A8B85
	v_mul_f32_e32 v134, v134, v70                              // 000000004600: 0B0C8D86
	v_mul_f32_e32 v135, v135, v71                              // 000000004604: 0B0E8F87
	s_waitcnt vmcnt(8)                                         // 000000004608: BF8C0F78
	buffer_load_dwordx4 a[16:19], v35, s[12:15], 0 offen       // 00000000460C: E05C1000 80831023
	v_mul_f32_e64 v44, -v136, s6                               // 000000004614: D105002C 20000D88
	v_mul_f32_e64 v45, -v137, s6                               // 00000000461C: D105002D 20000D89
	v_mul_f32_e64 v46, -v138, s6                               // 000000004624: D105002E 20000D8A
	v_mul_f32_e64 v47, -v139, s6                               // 00000000462C: D105002F 20000D8B
	v_exp_f32_e32 v44, v44                                     // 000000004634: 7E58412C
	v_exp_f32_e32 v45, v45                                     // 000000004638: 7E5A412D
	v_exp_f32_e32 v46, v46                                     // 00000000463C: 7E5C412E
	v_exp_f32_e32 v47, v47                                     // 000000004640: 7E5E412F
	buffer_load_dwordx4 a[20:23], v36, s[12:15], 0 offen       // 000000004644: E05C1000 80831424
	v_add_f32_e64 v44, v44, 1.0                                // 00000000464C: D101002C 0001E52C
	v_add_f32_e64 v45, v45, 1.0                                // 000000004654: D101002D 0001E52D
	v_add_f32_e64 v46, v46, 1.0                                // 00000000465C: D101002E 0001E52E
	v_add_f32_e64 v47, v47, 1.0                                // 000000004664: D101002F 0001E52F
	v_rcp_f32_e32 v44, v44                                     // 00000000466C: 7E58452C
	v_rcp_f32_e32 v45, v45                                     // 000000004670: 7E5A452D
	v_rcp_f32_e32 v46, v46                                     // 000000004674: 7E5C452E
	v_rcp_f32_e32 v47, v47                                     // 000000004678: 7E5E452F
	v_mul_f32_e32 v136, v136, v44                              // 00000000467C: 0B105988
	v_mul_f32_e32 v137, v137, v45                              // 000000004680: 0B125B89
	v_mul_f32_e32 v138, v138, v46                              // 000000004684: 0B145D8A
	v_mul_f32_e32 v139, v139, v47                              // 000000004688: 0B165F8B
	v_mul_f32_e32 v136, v136, v72                              // 00000000468C: 0B109188
	v_mul_f32_e32 v137, v137, v73                              // 000000004690: 0B129389
	v_mul_f32_e32 v138, v138, v74                              // 000000004694: 0B14958A
	v_mul_f32_e32 v139, v139, v75                              // 000000004698: 0B16978B
	buffer_load_dwordx4 a[24:27], v37, s[12:15], 0 offen       // 00000000469C: E05C1000 80831825
	v_mul_f32_e64 v44, -v140, s6                               // 0000000046A4: D105002C 20000D8C
	v_mul_f32_e64 v45, -v141, s6                               // 0000000046AC: D105002D 20000D8D
	v_mul_f32_e64 v46, -v142, s6                               // 0000000046B4: D105002E 20000D8E
	v_mul_f32_e64 v47, -v143, s6                               // 0000000046BC: D105002F 20000D8F
	v_exp_f32_e32 v44, v44                                     // 0000000046C4: 7E58412C
	v_exp_f32_e32 v45, v45                                     // 0000000046C8: 7E5A412D
	v_exp_f32_e32 v46, v46                                     // 0000000046CC: 7E5C412E
	v_exp_f32_e32 v47, v47                                     // 0000000046D0: 7E5E412F
	buffer_load_dwordx4 a[28:31], v38, s[12:15], 0 offen       // 0000000046D4: E05C1000 80831C26
	s_add_u32 s12, s78, s12                                    // 0000000046DC: 800C0C4E
	s_addc_u32 s13, 0, s13                                     // 0000000046E0: 820D0D80
	v_add_f32_e64 v44, v44, 1.0                                // 0000000046E4: D101002C 0001E52C
	v_add_f32_e64 v45, v45, 1.0                                // 0000000046EC: D101002D 0001E52D
	v_add_f32_e64 v46, v46, 1.0                                // 0000000046F4: D101002E 0001E52E
	v_add_f32_e64 v47, v47, 1.0                                // 0000000046FC: D101002F 0001E52F
	v_rcp_f32_e32 v44, v44                                     // 000000004704: 7E58452C
	v_rcp_f32_e32 v45, v45                                     // 000000004708: 7E5A452D
	v_rcp_f32_e32 v46, v46                                     // 00000000470C: 7E5C452E
	v_rcp_f32_e32 v47, v47                                     // 000000004710: 7E5E452F
	v_mul_f32_e32 v140, v140, v44                              // 000000004714: 0B18598C
	v_mul_f32_e32 v141, v141, v45                              // 000000004718: 0B1A5B8D
	v_mul_f32_e32 v142, v142, v46                              // 00000000471C: 0B1C5D8E
	v_mul_f32_e32 v143, v143, v47                              // 000000004720: 0B1E5F8F
	v_mul_f32_e32 v140, v140, v76                              // 000000004724: 0B18998C
	v_mul_f32_e32 v141, v141, v77                              // 000000004728: 0B1A9B8D
	v_mul_f32_e32 v142, v142, v78                              // 00000000472C: 0B1C9D8E
	v_mul_f32_e32 v143, v143, v79                              // 000000004730: 0B1E9F8F
	s_waitcnt vmcnt(8)                                         // 000000004734: BF8C0F78
	buffer_load_dwordx4 a[32:35], v35, s[12:15], 0 offen       // 000000004738: E05C1000 80832023
	v_mul_f32_e64 v44, -v144, s6                               // 000000004740: D105002C 20000D90
	v_mul_f32_e64 v45, -v145, s6                               // 000000004748: D105002D 20000D91
	v_mul_f32_e64 v46, -v146, s6                               // 000000004750: D105002E 20000D92
	v_mul_f32_e64 v47, -v147, s6                               // 000000004758: D105002F 20000D93
	v_exp_f32_e32 v44, v44                                     // 000000004760: 7E58412C
	v_exp_f32_e32 v45, v45                                     // 000000004764: 7E5A412D
	v_exp_f32_e32 v46, v46                                     // 000000004768: 7E5C412E
	v_exp_f32_e32 v47, v47                                     // 00000000476C: 7E5E412F
	buffer_load_dwordx4 a[36:39], v36, s[12:15], 0 offen       // 000000004770: E05C1000 80832424
	v_add_f32_e64 v44, v44, 1.0                                // 000000004778: D101002C 0001E52C
	v_add_f32_e64 v45, v45, 1.0                                // 000000004780: D101002D 0001E52D
	v_add_f32_e64 v46, v46, 1.0                                // 000000004788: D101002E 0001E52E
	v_add_f32_e64 v47, v47, 1.0                                // 000000004790: D101002F 0001E52F
	v_rcp_f32_e32 v44, v44                                     // 000000004798: 7E58452C
	v_rcp_f32_e32 v45, v45                                     // 00000000479C: 7E5A452D
	v_rcp_f32_e32 v46, v46                                     // 0000000047A0: 7E5C452E
	v_rcp_f32_e32 v47, v47                                     // 0000000047A4: 7E5E452F
	v_mul_f32_e32 v144, v144, v44                              // 0000000047A8: 0B205990
	v_mul_f32_e32 v145, v145, v45                              // 0000000047AC: 0B225B91
	v_mul_f32_e32 v146, v146, v46                              // 0000000047B0: 0B245D92
	v_mul_f32_e32 v147, v147, v47                              // 0000000047B4: 0B265F93
	v_mul_f32_e32 v144, v144, v80                              // 0000000047B8: 0B20A190
	v_mul_f32_e32 v145, v145, v81                              // 0000000047BC: 0B22A391
	v_mul_f32_e32 v146, v146, v82                              // 0000000047C0: 0B24A592
	v_mul_f32_e32 v147, v147, v83                              // 0000000047C4: 0B26A793
	buffer_load_dwordx4 a[40:43], v37, s[12:15], 0 offen       // 0000000047C8: E05C1000 80832825
	v_mul_f32_e64 v44, -v148, s6                               // 0000000047D0: D105002C 20000D94
	v_mul_f32_e64 v45, -v149, s6                               // 0000000047D8: D105002D 20000D95
	v_mul_f32_e64 v46, -v150, s6                               // 0000000047E0: D105002E 20000D96
	v_mul_f32_e64 v47, -v151, s6                               // 0000000047E8: D105002F 20000D97
	v_exp_f32_e32 v44, v44                                     // 0000000047F0: 7E58412C
	v_exp_f32_e32 v45, v45                                     // 0000000047F4: 7E5A412D
	v_exp_f32_e32 v46, v46                                     // 0000000047F8: 7E5C412E
	v_exp_f32_e32 v47, v47                                     // 0000000047FC: 7E5E412F
	buffer_load_dwordx4 a[44:47], v38, s[12:15], 0 offen       // 000000004800: E05C1000 80832C26
	v_add_f32_e64 v44, v44, 1.0                                // 000000004808: D101002C 0001E52C
	v_add_f32_e64 v45, v45, 1.0                                // 000000004810: D101002D 0001E52D
	v_add_f32_e64 v46, v46, 1.0                                // 000000004818: D101002E 0001E52E
	v_add_f32_e64 v47, v47, 1.0                                // 000000004820: D101002F 0001E52F
	v_rcp_f32_e32 v44, v44                                     // 000000004828: 7E58452C
	v_rcp_f32_e32 v45, v45                                     // 00000000482C: 7E5A452D
	v_rcp_f32_e32 v46, v46                                     // 000000004830: 7E5C452E
	v_rcp_f32_e32 v47, v47                                     // 000000004834: 7E5E452F
	v_mul_f32_e32 v148, v148, v44                              // 000000004838: 0B285994
	v_mul_f32_e32 v149, v149, v45                              // 00000000483C: 0B2A5B95
	v_mul_f32_e32 v150, v150, v46                              // 000000004840: 0B2C5D96
	v_mul_f32_e32 v151, v151, v47                              // 000000004844: 0B2E5F97
	v_mul_f32_e32 v148, v148, v84                              // 000000004848: 0B28A994
	v_mul_f32_e32 v149, v149, v85                              // 00000000484C: 0B2AAB95
	v_mul_f32_e32 v150, v150, v86                              // 000000004850: 0B2CAD96
	v_mul_f32_e32 v151, v151, v87                              // 000000004854: 0B2EAF97
	v_mul_f32_dpp v128, v16, v128 row_newbcast:0 row_mask:0xf bank_mask:0xf// 000000004858: 0B0100FA FF015010
	v_mul_f32_dpp v129, v16, v129 row_newbcast:1 row_mask:0xf bank_mask:0xf// 000000004860: 0B0302FA FF015110
	v_mul_f32_dpp v130, v16, v130 row_newbcast:2 row_mask:0xf bank_mask:0xf// 000000004868: 0B0504FA FF015210
	v_mul_f32_dpp v131, v16, v131 row_newbcast:3 row_mask:0xf bank_mask:0xf// 000000004870: 0B0706FA FF015310
	v_mul_f32_dpp v132, v16, v132 row_newbcast:0 row_mask:0xf bank_mask:0xf// 000000004878: 0B0908FA FF015010
	v_mul_f32_dpp v133, v16, v133 row_newbcast:1 row_mask:0xf bank_mask:0xf// 000000004880: 0B0B0AFA FF015110
	v_mul_f32_dpp v134, v16, v134 row_newbcast:2 row_mask:0xf bank_mask:0xf// 000000004888: 0B0D0CFA FF015210
	v_mul_f32_dpp v135, v16, v135 row_newbcast:3 row_mask:0xf bank_mask:0xf// 000000004890: 0B0F0EFA FF015310
	v_mul_f32_dpp v136, v16, v136 row_newbcast:4 row_mask:0xf bank_mask:0xf// 000000004898: 0B1110FA FF015410
	v_mul_f32_dpp v137, v16, v137 row_newbcast:5 row_mask:0xf bank_mask:0xf// 0000000048A0: 0B1312FA FF015510
	v_mul_f32_dpp v138, v16, v138 row_newbcast:6 row_mask:0xf bank_mask:0xf// 0000000048A8: 0B1514FA FF015610
	v_mul_f32_dpp v139, v16, v139 row_newbcast:7 row_mask:0xf bank_mask:0xf// 0000000048B0: 0B1716FA FF015710
	v_mul_f32_dpp v140, v16, v140 row_newbcast:4 row_mask:0xf bank_mask:0xf// 0000000048B8: 0B1918FA FF015410
	v_mul_f32_dpp v141, v16, v141 row_newbcast:5 row_mask:0xf bank_mask:0xf// 0000000048C0: 0B1B1AFA FF015510
	v_mul_f32_dpp v142, v16, v142 row_newbcast:6 row_mask:0xf bank_mask:0xf// 0000000048C8: 0B1D1CFA FF015610
	v_mul_f32_dpp v143, v16, v143 row_newbcast:7 row_mask:0xf bank_mask:0xf// 0000000048D0: 0B1F1EFA FF015710
	v_mul_f32_dpp v144, v16, v144 row_newbcast:8 row_mask:0xf bank_mask:0xf// 0000000048D8: 0B2120FA FF015810
	v_mul_f32_dpp v145, v16, v145 row_newbcast:9 row_mask:0xf bank_mask:0xf// 0000000048E0: 0B2322FA FF015910
	v_mul_f32_dpp v146, v16, v146 row_newbcast:10 row_mask:0xf bank_mask:0xf// 0000000048E8: 0B2524FA FF015A10
	v_mul_f32_dpp v147, v16, v147 row_newbcast:11 row_mask:0xf bank_mask:0xf// 0000000048F0: 0B2726FA FF015B10
	v_mul_f32_dpp v148, v16, v148 row_newbcast:8 row_mask:0xf bank_mask:0xf// 0000000048F8: 0B2928FA FF015810
	v_mul_f32_dpp v149, v16, v149 row_newbcast:9 row_mask:0xf bank_mask:0xf// 000000004900: 0B2B2AFA FF015910
	v_mul_f32_dpp v150, v16, v150 row_newbcast:10 row_mask:0xf bank_mask:0xf// 000000004908: 0B2D2CFA FF015A10
	v_mul_f32_dpp v151, v16, v151 row_newbcast:11 row_mask:0xf bank_mask:0xf// 000000004910: 0B2F2EFA FF015B10
	v_lshlrev_b32_e32 v44, 2, v0                               // 000000004918: 24580082
	s_mul_i32 s60, s82, s71                                    // 00000000491C: 923C4752
	v_add_u32_e64 v80, v44, s60                                // 000000004920: D1340050 0000792C
	v_mov_b32_e32 v81, 0                                       // 000000004928: 7EA20280
	s_mul_i32 s60, s83, s71                                    // 00000000492C: 923C4753
	v_add_u32_e64 v82, v44, s60                                // 000000004930: D1340052 0000792C
	v_mov_b32_e32 v83, 0                                       // 000000004938: 7EA60280
	s_mul_i32 s60, s84, s71                                    // 00000000493C: 923C4754
	v_add_u32_e64 v84, v44, s60                                // 000000004940: D1340054 0000792C
	v_mov_b32_e32 v85, 0                                       // 000000004948: 7EAA0280
	s_mul_i32 s60, s85, s71                                    // 00000000494C: 923C4755
	v_add_u32_e64 v86, v44, s60                                // 000000004950: D1340056 0000792C
	v_mov_b32_e32 v87, 0                                       // 000000004958: 7EAE0280
	s_mul_i32 s60, s86, s71                                    // 00000000495C: 923C4756
	v_add_u32_e64 v88, v44, s60                                // 000000004960: D1340058 0000792C
	v_mov_b32_e32 v89, 0                                       // 000000004968: 7EB20280
	s_mul_i32 s60, s87, s71                                    // 00000000496C: 923C4757
	v_add_u32_e64 v90, v44, s60                                // 000000004970: D134005A 0000792C
	v_mov_b32_e32 v91, 0                                       // 000000004978: 7EB60280
	s_mul_i32 s60, s88, s71                                    // 00000000497C: 923C4758
	v_add_u32_e64 v92, v44, s60                                // 000000004980: D134005C 0000792C
	v_mov_b32_e32 v93, 0                                       // 000000004988: 7EBA0280
	s_mul_i32 s60, s89, s71                                    // 00000000498C: 923C4759
	v_add_u32_e64 v94, v44, s60                                // 000000004990: D134005E 0000792C
	v_mov_b32_e32 v95, 0                                       // 000000004998: 7EBE0280
	buffer_load_dword v11, v5, s[16:19], 0 offen               // 00000000499C: E0501000 80040B05
	v_mov_b32_e32 v20, 0x358637bd                              // 0000000049A4: 7E2802FF 358637BD
	v_mov_b32_e32 v21, 0x358637bd                              // 0000000049AC: 7E2A02FF 358637BD
	v_max3_f32 v20, |v128|, |v129|, v20                        // 0000000049B4: D1D30314 04530380
	v_max3_f32 v20, |v130|, |v131|, v20                        // 0000000049BC: D1D30314 04530782
	v_max3_f32 v21, |v132|, |v133|, v21                        // 0000000049C4: D1D30315 04570B84
	v_max3_f32 v21, |v134|, |v135|, v21                        // 0000000049CC: D1D30315 04570F86
	v_max3_f32 v20, |v136|, |v137|, v20                        // 0000000049D4: D1D30314 04531388
	v_max3_f32 v20, |v138|, |v139|, v20                        // 0000000049DC: D1D30314 0453178A
	v_max3_f32 v21, |v140|, |v141|, v21                        // 0000000049E4: D1D30315 04571B8C
	v_max3_f32 v21, |v142|, |v143|, v21                        // 0000000049EC: D1D30315 04571F8E
	v_max3_f32 v20, |v144|, |v145|, v20                        // 0000000049F4: D1D30314 04532390
	v_max3_f32 v20, |v146|, |v147|, v20                        // 0000000049FC: D1D30314 04532792
	v_max3_f32 v21, |v148|, |v149|, v21                        // 000000004A04: D1D30315 04572B94
	v_max3_f32 v21, |v150|, |v151|, v21                        // 000000004A0C: D1D30315 04572F96
	v_lshlrev_b32_e32 v44, 3, v0                               // 000000004A14: 24580083
	s_mul_i32 s60, 0x200, s7                                   // 000000004A18: 923C07FF 00000200
	v_add_u32_e32 v44, s60, v44                                // 000000004A20: 6858583C
	ds_write_b64 v44, v[20:21] offset:16640                    // 000000004A24: D89A4100 0000142C
	s_waitcnt lgkmcnt(0)                                       // 000000004A2C: BF8CC07F
	s_barrier                                                  // 000000004A30: BF8A0000
	v_and_b32_e32 v44, 15, v0                                  // 000000004A34: 2658008F
	v_lshlrev_b32_e32 v44, 3, v44                              // 000000004A38: 24585883
	ds_read_b64 v[96:97], v44 offset:16640                     // 000000004A3C: D8EC4100 6000002C
	ds_read_b64 v[98:99], v44 offset:16768                     // 000000004A44: D8EC4180 6200002C
	ds_read_b64 v[100:101], v44 offset:16896                   // 000000004A4C: D8EC4200 6400002C
	ds_read_b64 v[102:103], v44 offset:17024                   // 000000004A54: D8EC4280 6600002C
	ds_read_b64 v[104:105], v44 offset:17152                   // 000000004A5C: D8EC4300 6800002C
	ds_read_b64 v[106:107], v44 offset:17280                   // 000000004A64: D8EC4380 6A00002C
	ds_read_b64 v[108:109], v44 offset:17408                   // 000000004A6C: D8EC4400 6C00002C
	ds_read_b64 v[110:111], v44 offset:17536                   // 000000004A74: D8EC4480 6E00002C
	ds_read_b64 v[112:113], v44 offset:17664                   // 000000004A7C: D8EC4500 7000002C
	ds_read_b64 v[114:115], v44 offset:17792                   // 000000004A84: D8EC4580 7200002C
	ds_read_b64 v[116:117], v44 offset:17920                   // 000000004A8C: D8EC4600 7400002C
	ds_read_b64 v[118:119], v44 offset:18048                   // 000000004A94: D8EC4680 7600002C
	ds_read_b64 v[120:121], v44 offset:18176                   // 000000004A9C: D8EC4700 7800002C
	ds_read_b64 v[122:123], v44 offset:18304                   // 000000004AA4: D8EC4780 7A00002C
	ds_read_b64 v[124:125], v44 offset:18432                   // 000000004AAC: D8EC4800 7C00002C
	ds_read_b64 v[126:127], v44 offset:18560                   // 000000004AB4: D8EC4880 7E00002C
	s_waitcnt lgkmcnt(0)                                       // 000000004ABC: BF8CC07F
	v_max3_f32 v20, |v96|, |v98|, v20                          // 000000004AC0: D1D30314 0452C560
	v_max3_f32 v21, |v97|, |v99|, v21                          // 000000004AC8: D1D30315 0456C761
	v_max3_f32 v20, |v100|, |v102|, v20                        // 000000004AD0: D1D30314 0452CD64
	v_max3_f32 v21, |v101|, |v103|, v21                        // 000000004AD8: D1D30315 0456CF65
	v_max3_f32 v20, |v104|, |v106|, v20                        // 000000004AE0: D1D30314 0452D568
	v_max3_f32 v21, |v105|, |v107|, v21                        // 000000004AE8: D1D30315 0456D769
	v_max3_f32 v20, |v108|, |v110|, v20                        // 000000004AF0: D1D30314 0452DD6C
	v_max3_f32 v21, |v109|, |v111|, v21                        // 000000004AF8: D1D30315 0456DF6D
	v_max3_f32 v20, |v112|, |v114|, v20                        // 000000004B00: D1D30314 0452E570
	v_max3_f32 v21, |v113|, |v115|, v21                        // 000000004B08: D1D30315 0456E771
	v_max3_f32 v20, |v116|, |v118|, v20                        // 000000004B10: D1D30314 0452ED74
	v_max3_f32 v21, |v117|, |v119|, v21                        // 000000004B18: D1D30315 0456EF75
	v_max3_f32 v20, |v120|, |v122|, v20                        // 000000004B20: D1D30314 0452F578
	v_max3_f32 v21, |v121|, |v123|, v21                        // 000000004B28: D1D30315 0456F779
	v_max3_f32 v20, |v124|, |v126|, v20                        // 000000004B30: D1D30314 0452FD7C
	v_max3_f32 v21, |v125|, |v127|, v21                        // 000000004B38: D1D30315 0456FF7D
	v_rcp_f32_e32 v20, v20                                     // 000000004B40: 7E284514
	v_rcp_f32_e32 v21, v21                                     // 000000004B44: 7E2A4515
	v_mov_b32_e32 v44, 0x43700000                              // 000000004B48: 7E5802FF 43700000
	v_mul_f32_e32 v20, v44, v20                                // 000000004B50: 0A28292C
	v_mul_f32_e32 v21, v44, v21                                // 000000004B54: 0A2A2B2C
	v_mul_f32_e32 v128, v20, v128                              // 000000004B58: 0B010114
	v_mul_f32_e32 v129, v20, v129                              // 000000004B5C: 0B030314
	v_mul_f32_e32 v130, v20, v130                              // 000000004B60: 0B050514
	v_mul_f32_e32 v131, v20, v131                              // 000000004B64: 0B070714
	v_cvt_pk_fp8_f32 v128, v128, v129                          // 000000004B68: D2A20080 00030380
	v_cvt_pk_fp8_f32 v128, v130, v131 op_sel:[0,0,1]           // 000000004B70: D2A24080 00030782
	v_mul_f32_e32 v132, v21, v132                              // 000000004B78: 0B090915
	v_mul_f32_e32 v133, v21, v133                              // 000000004B7C: 0B0B0B15
	v_mul_f32_e32 v134, v21, v134                              // 000000004B80: 0B0D0D15
	v_mul_f32_e32 v135, v21, v135                              // 000000004B84: 0B0F0F15
	v_cvt_pk_fp8_f32 v129, v132, v133                          // 000000004B88: D2A20081 00030B84
	v_cvt_pk_fp8_f32 v129, v134, v135 op_sel:[0,0,1]           // 000000004B90: D2A24081 00030F86
	v_mul_f32_e32 v136, v20, v136                              // 000000004B98: 0B111114
	v_mul_f32_e32 v137, v20, v137                              // 000000004B9C: 0B131314
	v_mul_f32_e32 v138, v20, v138                              // 000000004BA0: 0B151514
	v_mul_f32_e32 v139, v20, v139                              // 000000004BA4: 0B171714
	v_cvt_pk_fp8_f32 v130, v136, v137                          // 000000004BA8: D2A20082 00031388
	v_cvt_pk_fp8_f32 v130, v138, v139 op_sel:[0,0,1]           // 000000004BB0: D2A24082 0003178A
	v_mul_f32_e32 v140, v21, v140                              // 000000004BB8: 0B191915
	v_mul_f32_e32 v141, v21, v141                              // 000000004BBC: 0B1B1B15
	v_mul_f32_e32 v142, v21, v142                              // 000000004BC0: 0B1D1D15
	v_mul_f32_e32 v143, v21, v143                              // 000000004BC4: 0B1F1F15
	v_cvt_pk_fp8_f32 v131, v140, v141                          // 000000004BC8: D2A20083 00031B8C
	v_cvt_pk_fp8_f32 v131, v142, v143 op_sel:[0,0,1]           // 000000004BD0: D2A24083 00031F8E
	v_mul_f32_e32 v144, v20, v144                              // 000000004BD8: 0B212114
	v_mul_f32_e32 v145, v20, v145                              // 000000004BDC: 0B232314
	v_mul_f32_e32 v146, v20, v146                              // 000000004BE0: 0B252514
	v_mul_f32_e32 v147, v20, v147                              // 000000004BE4: 0B272714
	v_cvt_pk_fp8_f32 v132, v144, v145                          // 000000004BE8: D2A20084 00032390
	v_cvt_pk_fp8_f32 v132, v146, v147 op_sel:[0,0,1]           // 000000004BF0: D2A24084 00032792
	v_mul_f32_e32 v148, v21, v148                              // 000000004BF8: 0B292915
	v_mul_f32_e32 v149, v21, v149                              // 000000004BFC: 0B2B2B15
	v_mul_f32_e32 v150, v21, v150                              // 000000004C00: 0B2D2D15
	v_mul_f32_e32 v151, v21, v151                              // 000000004C04: 0B2F2F15
	v_cvt_pk_fp8_f32 v133, v148, v149                          // 000000004C08: D2A20085 00032B94
	v_cvt_pk_fp8_f32 v133, v150, v151 op_sel:[0,0,1]           // 000000004C10: D2A24085 00032F96
	v_rcp_f32_e32 v22, v20                                     // 000000004C18: 7E2C4514
	v_rcp_f32_e32 v23, v21                                     // 000000004C1C: 7E2E4515
	v_lshrrev_b32_e32 v44, 5, v0                               // 000000004C20: 20580085
	v_lshlrev_b32_e32 v45, 5, v44                              // 000000004C24: 245A5885
	v_and_b32_e32 v44, 31, v0                                  // 000000004C28: 2658009F
	v_lshrrev_b32_e32 v46, 4, v44                              // 000000004C2C: 205C5884
	v_add_u32_e32 v45, v46, v45                                // 000000004C30: 685A5B2E
	v_and_b32_e32 v44, 15, v0                                  // 000000004C34: 2658008F
	v_lshlrev_b32_e32 v44, 1, v44                              // 000000004C38: 24585881
	v_add_u32_e32 v45, v44, v45                                // 000000004C3C: 685A5B2C
	v_lshlrev_b32_e32 v44, 2, v45                              // 000000004C40: 24585A82
	s_mul_i32 s60, 0x100, s7                                   // 000000004C44: 923C07FF 00000100
	v_add_u32_e64 v44, v44, s60                                // 000000004C4C: D134002C 0000792C
	ds_write_b32 v44, v128 offset:18688                        // 000000004C54: D81A4900 0000802C
	ds_write_b32 v44, v129 offset:21760                        // 000000004C5C: D81A5500 0000812C
	ds_write_b32 v44, v130 offset:19712                        // 000000004C64: D81A4D00 0000822C
	ds_write_b32 v44, v131 offset:22784                        // 000000004C6C: D81A5900 0000832C
	ds_write_b32 v44, v132 offset:20736                        // 000000004C74: D81A5100 0000842C
	ds_write_b32 v44, v133 offset:23808                        // 000000004C7C: D81A5D00 0000852C
	s_waitcnt lgkmcnt(0)                                       // 000000004C84: BF8CC07F
	s_barrier                                                  // 000000004C88: BF8A0000
	v_lshrrev_b32_e32 v44, 4, v0                               // 000000004C8C: 20580084
	v_lshlrev_b32_e32 v45, 6, v44                              // 000000004C90: 245A5886
	v_and_b32_e32 v44, 15, v0                                  // 000000004C94: 2658008F
	v_lshlrev_b32_e32 v44, 1, v44                              // 000000004C98: 24585881
	v_add_u32_e32 v45, v44, v45                                // 000000004C9C: 685A5B2C
	v_lshlrev_b32_e32 v44, 2, v45                              // 000000004CA0: 24585A82
	ds_read_b64 v[128:129], v44 offset:18688                   // 000000004CA4: D8EC4900 8000002C
	ds_read_b64 v[130:131], v44 offset:18816                   // 000000004CAC: D8EC4980 8200002C
	ds_read_b64 v[132:133], v44 offset:19712                   // 000000004CB4: D8EC4D00 8400002C
	ds_read_b64 v[134:135], v44 offset:19840                   // 000000004CBC: D8EC4D80 8600002C
	ds_read_b64 v[136:137], v44 offset:20736                   // 000000004CC4: D8EC5100 8800002C
	ds_read_b64 v[138:139], v44 offset:20864                   // 000000004CCC: D8EC5180 8A00002C
	ds_read_b64 v[140:141], v44 offset:21760                   // 000000004CD4: D8EC5500 8C00002C
	ds_read_b64 v[142:143], v44 offset:21888                   // 000000004CDC: D8EC5580 8E00002C
	ds_read_b64 v[144:145], v44 offset:22784                   // 000000004CE4: D8EC5900 9000002C
	ds_read_b64 v[146:147], v44 offset:22912                   // 000000004CEC: D8EC5980 9200002C
	ds_read_b64 v[148:149], v44 offset:23808                   // 000000004CF4: D8EC5D00 9400002C
	ds_read_b64 v[150:151], v44 offset:23936                   // 000000004CFC: D8EC5D80 9600002C
	s_add_u32 s12, s56, s12                                    // 000000004D04: 800C0C38
	s_addc_u32 s13, 0, s13                                     // 000000004D08: 820D0D80
	s_add_u32 s16, s79, s16                                    // 000000004D0C: 8010104F
	s_addc_u32 s17, 0, s17                                     // 000000004D10: 82111180
	s_mov_b32 s80, 0                                           // 000000004D14: BED00080
	s_waitcnt vmcnt(0) expcnt(0) lgkmcnt(0)                    // 000000004D18: BF8C0000

0000000000004d1c <label_07C7>:
	s_waitcnt vmcnt(25)                                        // 000000004D1C: BF8C4F79
	s_barrier                                                  // 000000004D20: BF8A0000
	v_mfma_f32_16x16x32_fp8_fp8 v[152:155], a[0:1], v[128:129], 0// 000000004D24: D3F30098 0A030100
	v_mfma_f32_16x16x32_fp8_fp8 v[152:155], a[2:3], v[130:131], v[152:155]// 000000004D2C: D3F30098 0E630502
	buffer_load_dwordx4 a[48:51], v35, s[12:15], 0 offen       // 000000004D34: E05C1000 80833023
	v_mfma_f32_16x16x32_fp8_fp8 v[156:159], a[0:1], v[140:141], 0// 000000004D3C: D3F3009C 0A031900
	v_mfma_f32_16x16x32_fp8_fp8 v[156:159], a[2:3], v[142:143], v[156:159]// 000000004D44: D3F3009C 0E731D02
	v_mfma_f32_16x16x32_fp8_fp8 v[160:163], a[4:5], v[128:129], 0// 000000004D4C: D3F300A0 0A030104
	v_mfma_f32_16x16x32_fp8_fp8 v[160:163], a[6:7], v[130:131], v[160:163]// 000000004D54: D3F300A0 0E830506
	buffer_load_dwordx4 a[52:55], v36, s[12:15], 0 offen       // 000000004D5C: E05C1000 80833424
	v_mfma_f32_16x16x32_fp8_fp8 v[164:167], a[4:5], v[140:141], 0// 000000004D64: D3F300A4 0A031904
	v_mfma_f32_16x16x32_fp8_fp8 v[164:167], a[6:7], v[142:143], v[164:167]// 000000004D6C: D3F300A4 0E931D06
	v_mfma_f32_16x16x32_fp8_fp8 v[168:171], a[8:9], v[128:129], 0// 000000004D74: D3F300A8 0A030108
	v_mfma_f32_16x16x32_fp8_fp8 v[168:171], a[10:11], v[130:131], v[168:171]// 000000004D7C: D3F300A8 0EA3050A
	buffer_load_dwordx4 a[56:59], v37, s[12:15], 0 offen       // 000000004D84: E05C1000 80833825
	v_mfma_f32_16x16x32_fp8_fp8 v[172:175], a[8:9], v[140:141], 0// 000000004D8C: D3F300AC 0A031908
	v_mfma_f32_16x16x32_fp8_fp8 v[172:175], a[10:11], v[142:143], v[172:175]// 000000004D94: D3F300AC 0EB31D0A
	v_mfma_f32_16x16x32_fp8_fp8 v[176:179], a[12:13], v[128:129], 0// 000000004D9C: D3F300B0 0A03010C
	v_mfma_f32_16x16x32_fp8_fp8 v[176:179], a[14:15], v[130:131], v[176:179]// 000000004DA4: D3F300B0 0EC3050E
	buffer_load_dwordx4 a[60:63], v38, s[12:15], 0 offen       // 000000004DAC: E05C1000 80833C26
	s_add_u32 s12, s78, s12                                    // 000000004DB4: 800C0C4E
	s_addc_u32 s13, 0, s13                                     // 000000004DB8: 820D0D80
	v_mfma_f32_16x16x32_fp8_fp8 v[180:183], a[12:13], v[140:141], 0// 000000004DBC: D3F300B4 0A03190C
	v_mfma_f32_16x16x32_fp8_fp8 v[180:183], a[14:15], v[142:143], v[180:183]// 000000004DC4: D3F300B4 0ED31D0E
	s_waitcnt vmcnt(25)                                        // 000000004DCC: BF8C4F79
	v_mfma_f32_16x16x32_fp8_fp8 v[152:155], a[16:17], v[132:133], v[152:155]// 000000004DD0: D3F30098 0E630910
	v_mfma_f32_16x16x32_fp8_fp8 v[152:155], a[18:19], v[134:135], v[152:155]// 000000004DD8: D3F30098 0E630D12
	buffer_load_dwordx4 a[64:67], v35, s[12:15], 0 offen       // 000000004DE0: E05C1000 80834023
	v_mfma_f32_16x16x32_fp8_fp8 v[156:159], a[16:17], v[144:145], v[156:159]// 000000004DE8: D3F3009C 0E732110
	v_mfma_f32_16x16x32_fp8_fp8 v[156:159], a[18:19], v[146:147], v[156:159]// 000000004DF0: D3F3009C 0E732512
	v_mfma_f32_16x16x32_fp8_fp8 v[160:163], a[20:21], v[132:133], v[160:163]// 000000004DF8: D3F300A0 0E830914
	v_mfma_f32_16x16x32_fp8_fp8 v[160:163], a[22:23], v[134:135], v[160:163]// 000000004E00: D3F300A0 0E830D16
	buffer_load_dwordx4 a[68:71], v36, s[12:15], 0 offen       // 000000004E08: E05C1000 80834424
	v_mfma_f32_16x16x32_fp8_fp8 v[164:167], a[20:21], v[144:145], v[164:167]// 000000004E10: D3F300A4 0E932114
	v_mfma_f32_16x16x32_fp8_fp8 v[164:167], a[22:23], v[146:147], v[164:167]// 000000004E18: D3F300A4 0E932516
	v_mfma_f32_16x16x32_fp8_fp8 v[168:171], a[24:25], v[132:133], v[168:171]// 000000004E20: D3F300A8 0EA30918
	v_mfma_f32_16x16x32_fp8_fp8 v[168:171], a[26:27], v[134:135], v[168:171]// 000000004E28: D3F300A8 0EA30D1A
	buffer_load_dwordx4 a[72:75], v37, s[12:15], 0 offen       // 000000004E30: E05C1000 80834825
	v_mfma_f32_16x16x32_fp8_fp8 v[172:175], a[24:25], v[144:145], v[172:175]// 000000004E38: D3F300AC 0EB32118
	v_mfma_f32_16x16x32_fp8_fp8 v[172:175], a[26:27], v[146:147], v[172:175]// 000000004E40: D3F300AC 0EB3251A
	v_mfma_f32_16x16x32_fp8_fp8 v[176:179], a[28:29], v[132:133], v[176:179]// 000000004E48: D3F300B0 0EC3091C
	v_mfma_f32_16x16x32_fp8_fp8 v[176:179], a[30:31], v[134:135], v[176:179]// 000000004E50: D3F300B0 0EC30D1E
	buffer_load_dwordx4 a[76:79], v38, s[12:15], 0 offen       // 000000004E58: E05C1000 80834C26
	s_add_u32 s12, s78, s12                                    // 000000004E60: 800C0C4E
	s_addc_u32 s13, 0, s13                                     // 000000004E64: 820D0D80
	v_mfma_f32_16x16x32_fp8_fp8 v[180:183], a[28:29], v[144:145], v[180:183]// 000000004E68: D3F300B4 0ED3211C
	v_mfma_f32_16x16x32_fp8_fp8 v[180:183], a[30:31], v[146:147], v[180:183]// 000000004E70: D3F300B4 0ED3251E
	s_waitcnt vmcnt(24)                                        // 000000004E78: BF8C4F78
	v_mfma_f32_16x16x32_fp8_fp8 v[152:155], a[32:33], v[136:137], v[152:155]// 000000004E7C: D3F30098 0E631120
	v_mfma_f32_16x16x32_fp8_fp8 v[152:155], a[34:35], v[138:139], v[152:155]// 000000004E84: D3F30098 0E631522
	buffer_load_dwordx4 a[80:83], v35, s[12:15], 0 offen       // 000000004E8C: E05C1000 80835023
	v_mfma_f32_16x16x32_fp8_fp8 v[156:159], a[32:33], v[148:149], v[156:159]// 000000004E94: D3F3009C 0E732920
	v_mfma_f32_16x16x32_fp8_fp8 v[156:159], a[34:35], v[150:151], v[156:159]// 000000004E9C: D3F3009C 0E732D22
	buffer_load_dword v12, v5, s[16:19], 0 offen               // 000000004EA4: E0501000 80040C05
	v_mfma_f32_16x16x32_fp8_fp8 v[160:163], a[36:37], v[136:137], v[160:163]// 000000004EAC: D3F300A0 0E831124
	v_mfma_f32_16x16x32_fp8_fp8 v[160:163], a[38:39], v[138:139], v[160:163]// 000000004EB4: D3F300A0 0E831526
	buffer_load_dwordx4 a[84:87], v36, s[12:15], 0 offen       // 000000004EBC: E05C1000 80835424
	v_mfma_f32_16x16x32_fp8_fp8 v[164:167], a[36:37], v[148:149], v[164:167]// 000000004EC4: D3F300A4 0E932924
	v_mfma_f32_16x16x32_fp8_fp8 v[164:167], a[38:39], v[150:151], v[164:167]// 000000004ECC: D3F300A4 0E932D26
	v_mfma_f32_16x16x32_fp8_fp8 v[168:171], a[40:41], v[136:137], v[168:171]// 000000004ED4: D3F300A8 0EA31128
	v_mfma_f32_16x16x32_fp8_fp8 v[168:171], a[42:43], v[138:139], v[168:171]// 000000004EDC: D3F300A8 0EA3152A
	buffer_load_dwordx4 a[88:91], v37, s[12:15], 0 offen       // 000000004EE4: E05C1000 80835825
	v_mfma_f32_16x16x32_fp8_fp8 v[172:175], a[40:41], v[148:149], v[172:175]// 000000004EEC: D3F300AC 0EB32928
	v_mfma_f32_16x16x32_fp8_fp8 v[172:175], a[42:43], v[150:151], v[172:175]// 000000004EF4: D3F300AC 0EB32D2A
	v_mfma_f32_16x16x32_fp8_fp8 v[176:179], a[44:45], v[136:137], v[176:179]// 000000004EFC: D3F300B0 0EC3112C
	v_mfma_f32_16x16x32_fp8_fp8 v[176:179], a[46:47], v[138:139], v[176:179]// 000000004F04: D3F300B0 0EC3152E
	buffer_load_dwordx4 a[92:95], v38, s[12:15], 0 offen       // 000000004F0C: E05C1000 80835C26
	v_mfma_f32_16x16x32_fp8_fp8 v[180:183], a[44:45], v[148:149], v[180:183]// 000000004F14: D3F300B4 0ED3292C
	v_mfma_f32_16x16x32_fp8_fp8 v[180:183], a[46:47], v[150:151], v[180:183]// 000000004F1C: D3F300B4 0ED32D2E
	s_add_u32 s60, 0x200, s80                                  // 000000004F24: 803C50FF 00000200
	s_cmp_lt_u32 s60, s81                                      // 000000004F2C: BF0A513C
	s_cselect_b32 s56, s56, 0                                  // 000000004F30: 85388038
	s_cselect_b32 s78, s78, 0                                  // 000000004F34: 854E804E
	s_cselect_b32 s79, s79, 0                                  // 000000004F38: 854F804F
	s_add_u32 s12, s56, s12                                    // 000000004F3C: 800C0C38
	s_addc_u32 s13, 0, s13                                     // 000000004F40: 820D0D80
	s_add_u32 s16, s79, s16                                    // 000000004F44: 8010104F
	s_addc_u32 s17, 0, s17                                     // 000000004F48: 82111180
	v_mul_f32_e32 v152, v22, v152                              // 000000004F4C: 0B313116
	v_mul_f32_e32 v153, v22, v153                              // 000000004F50: 0B333316
	v_mul_f32_e32 v154, v22, v154                              // 000000004F54: 0B353516
	v_mul_f32_e32 v155, v22, v155                              // 000000004F58: 0B373716
	v_mul_f32_dpp v152, v11, v152 row_newbcast:0 row_mask:0xf bank_mask:0xf// 000000004F5C: 0B3130FA FF01500B
	v_mul_f32_dpp v153, v11, v153 row_newbcast:1 row_mask:0xf bank_mask:0xf// 000000004F64: 0B3332FA FF01510B
	v_mul_f32_dpp v154, v11, v154 row_newbcast:2 row_mask:0xf bank_mask:0xf// 000000004F6C: 0B3534FA FF01520B
	v_mul_f32_dpp v155, v11, v155 row_newbcast:3 row_mask:0xf bank_mask:0xf// 000000004F74: 0B3736FA FF01530B
	v_mul_f32_e32 v152, v17, v152                              // 000000004F7C: 0B313111
	v_mul_f32_e32 v153, v17, v153                              // 000000004F80: 0B333311
	v_mul_f32_e32 v154, v17, v154                              // 000000004F84: 0B353511
	v_mul_f32_e32 v155, v17, v155                              // 000000004F88: 0B373711
	v_mul_f32_e32 v156, v23, v156                              // 000000004F8C: 0B393917
	v_mul_f32_e32 v157, v23, v157                              // 000000004F90: 0B3B3B17
	v_mul_f32_e32 v158, v23, v158                              // 000000004F94: 0B3D3D17
	v_mul_f32_e32 v159, v23, v159                              // 000000004F98: 0B3F3F17
	v_mul_f32_dpp v156, v11, v156 row_newbcast:0 row_mask:0xf bank_mask:0xf// 000000004F9C: 0B3938FA FF01500B
	v_mul_f32_dpp v157, v11, v157 row_newbcast:1 row_mask:0xf bank_mask:0xf// 000000004FA4: 0B3B3AFA FF01510B
	v_mul_f32_dpp v158, v11, v158 row_newbcast:2 row_mask:0xf bank_mask:0xf// 000000004FAC: 0B3D3CFA FF01520B
	v_mul_f32_dpp v159, v11, v159 row_newbcast:3 row_mask:0xf bank_mask:0xf// 000000004FB4: 0B3F3EFA FF01530B
	v_mul_f32_e32 v156, v18, v156                              // 000000004FBC: 0B393912
	v_mul_f32_e32 v157, v18, v157                              // 000000004FC0: 0B3B3B12
	v_mul_f32_e32 v158, v18, v158                              // 000000004FC4: 0B3D3D12
	v_mul_f32_e32 v159, v18, v159                              // 000000004FC8: 0B3F3F12
	v_mul_f32_e32 v160, v22, v160                              // 000000004FCC: 0B414116
	v_mul_f32_e32 v161, v22, v161                              // 000000004FD0: 0B434316
	v_mul_f32_e32 v162, v22, v162                              // 000000004FD4: 0B454516
	v_mul_f32_e32 v163, v22, v163                              // 000000004FD8: 0B474716
	v_mul_f32_dpp v160, v11, v160 row_newbcast:4 row_mask:0xf bank_mask:0xf// 000000004FDC: 0B4140FA FF01540B
	v_mul_f32_dpp v161, v11, v161 row_newbcast:5 row_mask:0xf bank_mask:0xf// 000000004FE4: 0B4342FA FF01550B
	v_mul_f32_dpp v162, v11, v162 row_newbcast:6 row_mask:0xf bank_mask:0xf// 000000004FEC: 0B4544FA FF01560B
	v_mul_f32_dpp v163, v11, v163 row_newbcast:7 row_mask:0xf bank_mask:0xf// 000000004FF4: 0B4746FA FF01570B
	v_mul_f32_e32 v160, v17, v160                              // 000000004FFC: 0B414111
	v_mul_f32_e32 v161, v17, v161                              // 000000005000: 0B434311
	v_mul_f32_e32 v162, v17, v162                              // 000000005004: 0B454511
	v_mul_f32_e32 v163, v17, v163                              // 000000005008: 0B474711
	v_mul_f32_e32 v164, v23, v164                              // 00000000500C: 0B494917
	v_mul_f32_e32 v165, v23, v165                              // 000000005010: 0B4B4B17
	v_mul_f32_e32 v166, v23, v166                              // 000000005014: 0B4D4D17
	v_mul_f32_e32 v167, v23, v167                              // 000000005018: 0B4F4F17
	v_mul_f32_dpp v164, v11, v164 row_newbcast:4 row_mask:0xf bank_mask:0xf// 00000000501C: 0B4948FA FF01540B
	v_mul_f32_dpp v165, v11, v165 row_newbcast:5 row_mask:0xf bank_mask:0xf// 000000005024: 0B4B4AFA FF01550B
	v_mul_f32_dpp v166, v11, v166 row_newbcast:6 row_mask:0xf bank_mask:0xf// 00000000502C: 0B4D4CFA FF01560B
	v_mul_f32_dpp v167, v11, v167 row_newbcast:7 row_mask:0xf bank_mask:0xf// 000000005034: 0B4F4EFA FF01570B
	v_mul_f32_e32 v164, v18, v164                              // 00000000503C: 0B494912
	v_mul_f32_e32 v165, v18, v165                              // 000000005040: 0B4B4B12
	v_mul_f32_e32 v166, v18, v166                              // 000000005044: 0B4D4D12
	v_mul_f32_e32 v167, v18, v167                              // 000000005048: 0B4F4F12
	v_mul_f32_e32 v168, v22, v168                              // 00000000504C: 0B515116
	v_mul_f32_e32 v169, v22, v169                              // 000000005050: 0B535316
	v_mul_f32_e32 v170, v22, v170                              // 000000005054: 0B555516
	v_mul_f32_e32 v171, v22, v171                              // 000000005058: 0B575716
	v_mul_f32_dpp v168, v11, v168 row_newbcast:8 row_mask:0xf bank_mask:0xf// 00000000505C: 0B5150FA FF01580B
	v_mul_f32_dpp v169, v11, v169 row_newbcast:9 row_mask:0xf bank_mask:0xf// 000000005064: 0B5352FA FF01590B
	v_mul_f32_dpp v170, v11, v170 row_newbcast:10 row_mask:0xf bank_mask:0xf// 00000000506C: 0B5554FA FF015A0B
	v_mul_f32_dpp v171, v11, v171 row_newbcast:11 row_mask:0xf bank_mask:0xf// 000000005074: 0B5756FA FF015B0B
	v_mul_f32_e32 v168, v17, v168                              // 00000000507C: 0B515111
	v_mul_f32_e32 v169, v17, v169                              // 000000005080: 0B535311
	v_mul_f32_e32 v170, v17, v170                              // 000000005084: 0B555511
	v_mul_f32_e32 v171, v17, v171                              // 000000005088: 0B575711
	v_mul_f32_e32 v172, v23, v172                              // 00000000508C: 0B595917
	v_mul_f32_e32 v173, v23, v173                              // 000000005090: 0B5B5B17
	v_mul_f32_e32 v174, v23, v174                              // 000000005094: 0B5D5D17
	v_mul_f32_e32 v175, v23, v175                              // 000000005098: 0B5F5F17
	v_mul_f32_dpp v172, v11, v172 row_newbcast:8 row_mask:0xf bank_mask:0xf// 00000000509C: 0B5958FA FF01580B
	v_mul_f32_dpp v173, v11, v173 row_newbcast:9 row_mask:0xf bank_mask:0xf// 0000000050A4: 0B5B5AFA FF01590B
	v_mul_f32_dpp v174, v11, v174 row_newbcast:10 row_mask:0xf bank_mask:0xf// 0000000050AC: 0B5D5CFA FF015A0B
	v_mul_f32_dpp v175, v11, v175 row_newbcast:11 row_mask:0xf bank_mask:0xf// 0000000050B4: 0B5F5EFA FF015B0B
	v_mul_f32_e32 v172, v18, v172                              // 0000000050BC: 0B595912
	v_mul_f32_e32 v173, v18, v173                              // 0000000050C0: 0B5B5B12
	v_mul_f32_e32 v174, v18, v174                              // 0000000050C4: 0B5D5D12
	v_mul_f32_e32 v175, v18, v175                              // 0000000050C8: 0B5F5F12
	v_mul_f32_e32 v176, v22, v176                              // 0000000050CC: 0B616116
	v_mul_f32_e32 v177, v22, v177                              // 0000000050D0: 0B636316
	v_mul_f32_e32 v178, v22, v178                              // 0000000050D4: 0B656516
	v_mul_f32_e32 v179, v22, v179                              // 0000000050D8: 0B676716
	v_mul_f32_dpp v176, v11, v176 row_newbcast:12 row_mask:0xf bank_mask:0xf// 0000000050DC: 0B6160FA FF015C0B
	v_mul_f32_dpp v177, v11, v177 row_newbcast:13 row_mask:0xf bank_mask:0xf// 0000000050E4: 0B6362FA FF015D0B
	v_mul_f32_dpp v178, v11, v178 row_newbcast:14 row_mask:0xf bank_mask:0xf// 0000000050EC: 0B6564FA FF015E0B
	v_mul_f32_dpp v179, v11, v179 row_newbcast:15 row_mask:0xf bank_mask:0xf// 0000000050F4: 0B6766FA FF015F0B
	v_mul_f32_e32 v176, v17, v176                              // 0000000050FC: 0B616111
	v_mul_f32_e32 v177, v17, v177                              // 000000005100: 0B636311
	v_mul_f32_e32 v178, v17, v178                              // 000000005104: 0B656511
	v_mul_f32_e32 v179, v17, v179                              // 000000005108: 0B676711
	v_mul_f32_e32 v180, v23, v180                              // 00000000510C: 0B696917
	v_mul_f32_e32 v181, v23, v181                              // 000000005110: 0B6B6B17
	v_mul_f32_e32 v182, v23, v182                              // 000000005114: 0B6D6D17
	v_mul_f32_e32 v183, v23, v183                              // 000000005118: 0B6F6F17
	v_mul_f32_dpp v180, v11, v180 row_newbcast:12 row_mask:0xf bank_mask:0xf// 00000000511C: 0B6968FA FF015C0B
	v_mul_f32_dpp v181, v11, v181 row_newbcast:13 row_mask:0xf bank_mask:0xf// 000000005124: 0B6B6AFA FF015D0B
	v_mul_f32_dpp v182, v11, v182 row_newbcast:14 row_mask:0xf bank_mask:0xf// 00000000512C: 0B6D6CFA FF015E0B
	v_mul_f32_dpp v183, v11, v183 row_newbcast:15 row_mask:0xf bank_mask:0xf// 000000005134: 0B6F6EFA FF015F0B
	v_mul_f32_e32 v180, v18, v180                              // 00000000513C: 0B696912
	v_mul_f32_e32 v181, v18, v181                              // 000000005140: 0B6B6B12
	v_mul_f32_e32 v182, v18, v182                              // 000000005144: 0B6D6D12
	v_mul_f32_e32 v183, v18, v183                              // 000000005148: 0B6F6F12
	v_cmp_u_f32_e64 s[48:49], v152, v152                       // 00000000514C: D0480030 00033198
	v_add3_u32 v39, v152, v42, 1                               // 000000005154: D1FF0027 02065598
	v_cndmask_b32_e64 v44, v39, v41, s[48:49]                  // 00000000515C: D100002C 00C25327
	v_cmp_u_f32_e64 s[48:49], v153, v153                       // 000000005164: D0480030 00033399
	v_add3_u32 v39, v153, v42, 1                               // 00000000516C: D1FF0027 02065599
	v_cndmask_b32_e64 v45, v39, v41, s[48:49]                  // 000000005174: D100002D 00C25327
	v_perm_b32 v152, v45, v44, s52                             // 00000000517C: D1ED0098 00D2592D
	v_cmp_u_f32_e64 s[48:49], v154, v154                       // 000000005184: D0480030 0003359A
	v_add3_u32 v39, v154, v42, 1                               // 00000000518C: D1FF0027 0206559A
	v_cndmask_b32_e64 v44, v39, v41, s[48:49]                  // 000000005194: D100002C 00C25327
	v_cmp_u_f32_e64 s[48:49], v155, v155                       // 00000000519C: D0480030 0003379B
	v_add3_u32 v39, v155, v42, 1                               // 0000000051A4: D1FF0027 0206559B
	v_cndmask_b32_e64 v45, v39, v41, s[48:49]                  // 0000000051AC: D100002D 00C25327
	v_perm_b32 v153, v45, v44, s52                             // 0000000051B4: D1ED0099 00D2592D
	v_cmp_u_f32_e64 s[48:49], v156, v156                       // 0000000051BC: D0480030 0003399C
	v_add3_u32 v39, v156, v42, 1                               // 0000000051C4: D1FF0027 0206559C
	v_cndmask_b32_e64 v44, v39, v41, s[48:49]                  // 0000000051CC: D100002C 00C25327
	v_cmp_u_f32_e64 s[48:49], v157, v157                       // 0000000051D4: D0480030 00033B9D
	v_add3_u32 v39, v157, v42, 1                               // 0000000051DC: D1FF0027 0206559D
	v_cndmask_b32_e64 v45, v39, v41, s[48:49]                  // 0000000051E4: D100002D 00C25327
	v_perm_b32 v154, v45, v44, s52                             // 0000000051EC: D1ED009A 00D2592D
	v_cmp_u_f32_e64 s[48:49], v158, v158                       // 0000000051F4: D0480030 00033D9E
	v_add3_u32 v39, v158, v42, 1                               // 0000000051FC: D1FF0027 0206559E
	v_cndmask_b32_e64 v44, v39, v41, s[48:49]                  // 000000005204: D100002C 00C25327
	v_cmp_u_f32_e64 s[48:49], v159, v159                       // 00000000520C: D0480030 00033F9F
	v_add3_u32 v39, v159, v42, 1                               // 000000005214: D1FF0027 0206559F
	v_cndmask_b32_e64 v45, v39, v41, s[48:49]                  // 00000000521C: D100002D 00C25327
	v_perm_b32 v155, v45, v44, s52                             // 000000005224: D1ED009B 00D2592D
	v_cmp_u_f32_e64 s[48:49], v160, v160                       // 00000000522C: D0480030 000341A0
	v_add3_u32 v39, v160, v42, 1                               // 000000005234: D1FF0027 020655A0
	v_cndmask_b32_e64 v44, v39, v41, s[48:49]                  // 00000000523C: D100002C 00C25327
	v_cmp_u_f32_e64 s[48:49], v161, v161                       // 000000005244: D0480030 000343A1
	v_add3_u32 v39, v161, v42, 1                               // 00000000524C: D1FF0027 020655A1
	v_cndmask_b32_e64 v45, v39, v41, s[48:49]                  // 000000005254: D100002D 00C25327
	v_perm_b32 v156, v45, v44, s52                             // 00000000525C: D1ED009C 00D2592D
	v_cmp_u_f32_e64 s[48:49], v162, v162                       // 000000005264: D0480030 000345A2
	v_add3_u32 v39, v162, v42, 1                               // 00000000526C: D1FF0027 020655A2
	v_cndmask_b32_e64 v44, v39, v41, s[48:49]                  // 000000005274: D100002C 00C25327
	v_cmp_u_f32_e64 s[48:49], v163, v163                       // 00000000527C: D0480030 000347A3
	v_add3_u32 v39, v163, v42, 1                               // 000000005284: D1FF0027 020655A3
	v_cndmask_b32_e64 v45, v39, v41, s[48:49]                  // 00000000528C: D100002D 00C25327
	v_perm_b32 v157, v45, v44, s52                             // 000000005294: D1ED009D 00D2592D
	v_cmp_u_f32_e64 s[48:49], v164, v164                       // 00000000529C: D0480030 000349A4
	v_add3_u32 v39, v164, v42, 1                               // 0000000052A4: D1FF0027 020655A4
	v_cndmask_b32_e64 v44, v39, v41, s[48:49]                  // 0000000052AC: D100002C 00C25327
	v_cmp_u_f32_e64 s[48:49], v165, v165                       // 0000000052B4: D0480030 00034BA5
	v_add3_u32 v39, v165, v42, 1                               // 0000000052BC: D1FF0027 020655A5
	v_cndmask_b32_e64 v45, v39, v41, s[48:49]                  // 0000000052C4: D100002D 00C25327
	v_perm_b32 v158, v45, v44, s52                             // 0000000052CC: D1ED009E 00D2592D
	v_cmp_u_f32_e64 s[48:49], v166, v166                       // 0000000052D4: D0480030 00034DA6
	v_add3_u32 v39, v166, v42, 1                               // 0000000052DC: D1FF0027 020655A6
	v_cndmask_b32_e64 v44, v39, v41, s[48:49]                  // 0000000052E4: D100002C 00C25327
	v_cmp_u_f32_e64 s[48:49], v167, v167                       // 0000000052EC: D0480030 00034FA7
	v_add3_u32 v39, v167, v42, 1                               // 0000000052F4: D1FF0027 020655A7
	v_cndmask_b32_e64 v45, v39, v41, s[48:49]                  // 0000000052FC: D100002D 00C25327
	v_perm_b32 v159, v45, v44, s52                             // 000000005304: D1ED009F 00D2592D
	v_cmp_u_f32_e64 s[48:49], v168, v168                       // 00000000530C: D0480030 000351A8
	v_add3_u32 v39, v168, v42, 1                               // 000000005314: D1FF0027 020655A8
	v_cndmask_b32_e64 v44, v39, v41, s[48:49]                  // 00000000531C: D100002C 00C25327
	v_cmp_u_f32_e64 s[48:49], v169, v169                       // 000000005324: D0480030 000353A9
	v_add3_u32 v39, v169, v42, 1                               // 00000000532C: D1FF0027 020655A9
	v_cndmask_b32_e64 v45, v39, v41, s[48:49]                  // 000000005334: D100002D 00C25327
	v_perm_b32 v160, v45, v44, s52                             // 00000000533C: D1ED00A0 00D2592D
	v_cmp_u_f32_e64 s[48:49], v170, v170                       // 000000005344: D0480030 000355AA
	v_add3_u32 v39, v170, v42, 1                               // 00000000534C: D1FF0027 020655AA
	v_cndmask_b32_e64 v44, v39, v41, s[48:49]                  // 000000005354: D100002C 00C25327
	v_cmp_u_f32_e64 s[48:49], v171, v171                       // 00000000535C: D0480030 000357AB
	v_add3_u32 v39, v171, v42, 1                               // 000000005364: D1FF0027 020655AB
	v_cndmask_b32_e64 v45, v39, v41, s[48:49]                  // 00000000536C: D100002D 00C25327
	v_perm_b32 v161, v45, v44, s52                             // 000000005374: D1ED00A1 00D2592D
	v_cmp_u_f32_e64 s[48:49], v172, v172                       // 00000000537C: D0480030 000359AC
	v_add3_u32 v39, v172, v42, 1                               // 000000005384: D1FF0027 020655AC
	v_cndmask_b32_e64 v44, v39, v41, s[48:49]                  // 00000000538C: D100002C 00C25327
	v_cmp_u_f32_e64 s[48:49], v173, v173                       // 000000005394: D0480030 00035BAD
	v_add3_u32 v39, v173, v42, 1                               // 00000000539C: D1FF0027 020655AD
	v_cndmask_b32_e64 v45, v39, v41, s[48:49]                  // 0000000053A4: D100002D 00C25327
	v_perm_b32 v162, v45, v44, s52                             // 0000000053AC: D1ED00A2 00D2592D
	v_cmp_u_f32_e64 s[48:49], v174, v174                       // 0000000053B4: D0480030 00035DAE
	v_add3_u32 v39, v174, v42, 1                               // 0000000053BC: D1FF0027 020655AE
	v_cndmask_b32_e64 v44, v39, v41, s[48:49]                  // 0000000053C4: D100002C 00C25327
	v_cmp_u_f32_e64 s[48:49], v175, v175                       // 0000000053CC: D0480030 00035FAF
	v_add3_u32 v39, v175, v42, 1                               // 0000000053D4: D1FF0027 020655AF
	v_cndmask_b32_e64 v45, v39, v41, s[48:49]                  // 0000000053DC: D100002D 00C25327
	v_perm_b32 v163, v45, v44, s52                             // 0000000053E4: D1ED00A3 00D2592D
	v_cmp_u_f32_e64 s[48:49], v176, v176                       // 0000000053EC: D0480030 000361B0
	v_add3_u32 v39, v176, v42, 1                               // 0000000053F4: D1FF0027 020655B0
	v_cndmask_b32_e64 v44, v39, v41, s[48:49]                  // 0000000053FC: D100002C 00C25327
	v_cmp_u_f32_e64 s[48:49], v177, v177                       // 000000005404: D0480030 000363B1
	v_add3_u32 v39, v177, v42, 1                               // 00000000540C: D1FF0027 020655B1
	v_cndmask_b32_e64 v45, v39, v41, s[48:49]                  // 000000005414: D100002D 00C25327
	v_perm_b32 v164, v45, v44, s52                             // 00000000541C: D1ED00A4 00D2592D
	v_cmp_u_f32_e64 s[48:49], v178, v178                       // 000000005424: D0480030 000365B2
	v_add3_u32 v39, v178, v42, 1                               // 00000000542C: D1FF0027 020655B2
	v_cndmask_b32_e64 v44, v39, v41, s[48:49]                  // 000000005434: D100002C 00C25327
	v_cmp_u_f32_e64 s[48:49], v179, v179                       // 00000000543C: D0480030 000367B3
	v_add3_u32 v39, v179, v42, 1                               // 000000005444: D1FF0027 020655B3
	v_cndmask_b32_e64 v45, v39, v41, s[48:49]                  // 00000000544C: D100002D 00C25327
	v_perm_b32 v165, v45, v44, s52                             // 000000005454: D1ED00A5 00D2592D
	v_cmp_u_f32_e64 s[48:49], v180, v180                       // 00000000545C: D0480030 000369B4
	v_add3_u32 v39, v180, v42, 1                               // 000000005464: D1FF0027 020655B4
	v_cndmask_b32_e64 v44, v39, v41, s[48:49]                  // 00000000546C: D100002C 00C25327
	v_cmp_u_f32_e64 s[48:49], v181, v181                       // 000000005474: D0480030 00036BB5
	v_add3_u32 v39, v181, v42, 1                               // 00000000547C: D1FF0027 020655B5
	v_cndmask_b32_e64 v45, v39, v41, s[48:49]                  // 000000005484: D100002D 00C25327
	v_perm_b32 v166, v45, v44, s52                             // 00000000548C: D1ED00A6 00D2592D
	v_cmp_u_f32_e64 s[48:49], v182, v182                       // 000000005494: D0480030 00036DB6
	v_add3_u32 v39, v182, v42, 1                               // 00000000549C: D1FF0027 020655B6
	v_cndmask_b32_e64 v44, v39, v41, s[48:49]                  // 0000000054A4: D100002C 00C25327
	v_cmp_u_f32_e64 s[48:49], v183, v183                       // 0000000054AC: D0480030 00036FB7
	v_add3_u32 v39, v183, v42, 1                               // 0000000054B4: D1FF0027 020655B7
	v_cndmask_b32_e64 v45, v39, v41, s[48:49]                  // 0000000054BC: D100002D 00C25327
	v_perm_b32 v167, v45, v44, s52                             // 0000000054C4: D1ED00A7 00D2592D
	ds_write_b64 v3, v[152:153] offset:24832                   // 0000000054CC: D89A6100 00009803
	ds_write_b64 v3, v[154:155] offset:33536                   // 0000000054D4: D89A8300 00009A03
	ds_write_b64 v3, v[156:157] offset:27008                   // 0000000054DC: D89A6980 00009C03
	ds_write_b64 v3, v[158:159] offset:35712                   // 0000000054E4: D89A8B80 00009E03
	ds_write_b64 v3, v[160:161] offset:29184                   // 0000000054EC: D89A7200 0000A003
	ds_write_b64 v3, v[162:163] offset:37888                   // 0000000054F4: D89A9400 0000A203
	ds_write_b64 v3, v[164:165] offset:31360                   // 0000000054FC: D89A7A80 0000A403
	ds_write_b64 v3, v[166:167] offset:40064                   // 000000005504: D89A9C80 0000A603
	s_waitcnt lgkmcnt(0)                                       // 00000000550C: BF8CC07F
	s_barrier                                                  // 000000005510: BF8A0000
	ds_read_b32 v64, v4 offset:24832                           // 000000005514: D86C6100 40000004
	ds_read_b32 v65, v4 offset:29184                           // 00000000551C: D86C7200 41000004
	ds_read_b32 v66, v4 offset:24864                           // 000000005524: D86C6120 42000004
	ds_read_b32 v67, v4 offset:29216                           // 00000000552C: D86C7220 43000004
	ds_read_b32 v68, v4 offset:24896                           // 000000005534: D86C6140 44000004
	ds_read_b32 v69, v4 offset:29248                           // 00000000553C: D86C7240 45000004
	ds_read_b32 v70, v4 offset:24928                           // 000000005544: D86C6160 46000004
	ds_read_b32 v71, v4 offset:29280                           // 00000000554C: D86C7260 47000004
	ds_read_b32 v72, v4 offset:33536                           // 000000005554: D86C8300 48000004
	ds_read_b32 v73, v4 offset:37888                           // 00000000555C: D86C9400 49000004
	ds_read_b32 v74, v4 offset:33568                           // 000000005564: D86C8320 4A000004
	ds_read_b32 v75, v4 offset:37920                           // 00000000556C: D86C9420 4B000004
	ds_read_b32 v76, v4 offset:33600                           // 000000005574: D86C8340 4C000004
	ds_read_b32 v77, v4 offset:37952                           // 00000000557C: D86C9440 4D000004
	ds_read_b32 v78, v4 offset:33632                           // 000000005584: D86C8360 4E000004
	ds_read_b32 v79, v4 offset:37984                           // 00000000558C: D86C9460 4F000004
	s_waitcnt lgkmcnt(0)                                       // 000000005594: BF8CC07F
	s_mov_b64 exec, s[20:21]                                   // 000000005598: BEFE0114
	global_atomic_pk_add_f16 v80, v64, s[8:9]                  // 00000000559C: DD388000 00084050
	s_mov_b64 exec, s[36:37]                                   // 0000000055A4: BEFE0124
	s_mov_b64 exec, s[20:21]                                   // 0000000055A8: BEFE0114
	global_atomic_pk_add_f16 v80, v65, s[8:9] offset:256       // 0000000055AC: DD388100 00084150
	s_mov_b64 exec, s[36:37]                                   // 0000000055B4: BEFE0124
	s_mov_b64 exec, s[22:23]                                   // 0000000055B8: BEFE0116
	global_atomic_pk_add_f16 v82, v66, s[8:9]                  // 0000000055BC: DD388000 00084252
	s_mov_b64 exec, s[36:37]                                   // 0000000055C4: BEFE0124
	s_mov_b64 exec, s[22:23]                                   // 0000000055C8: BEFE0116
	global_atomic_pk_add_f16 v82, v67, s[8:9] offset:256       // 0000000055CC: DD388100 00084352
	s_mov_b64 exec, s[36:37]                                   // 0000000055D4: BEFE0124
	s_mov_b64 exec, s[24:25]                                   // 0000000055D8: BEFE0118
	global_atomic_pk_add_f16 v84, v68, s[8:9]                  // 0000000055DC: DD388000 00084454
	s_mov_b64 exec, s[36:37]                                   // 0000000055E4: BEFE0124
	s_mov_b64 exec, s[24:25]                                   // 0000000055E8: BEFE0118
	global_atomic_pk_add_f16 v84, v69, s[8:9] offset:256       // 0000000055EC: DD388100 00084554
	s_mov_b64 exec, s[36:37]                                   // 0000000055F4: BEFE0124
	s_mov_b64 exec, s[26:27]                                   // 0000000055F8: BEFE011A
	global_atomic_pk_add_f16 v86, v70, s[8:9]                  // 0000000055FC: DD388000 00084656
	s_mov_b64 exec, s[36:37]                                   // 000000005604: BEFE0124
	s_mov_b64 exec, s[26:27]                                   // 000000005608: BEFE011A
	global_atomic_pk_add_f16 v86, v71, s[8:9] offset:256       // 00000000560C: DD388100 00084756
	s_mov_b64 exec, s[36:37]                                   // 000000005614: BEFE0124
	s_mov_b64 exec, s[28:29]                                   // 000000005618: BEFE011C
	global_atomic_pk_add_f16 v88, v72, s[8:9]                  // 00000000561C: DD388000 00084858
	s_mov_b64 exec, s[36:37]                                   // 000000005624: BEFE0124
	s_mov_b64 exec, s[28:29]                                   // 000000005628: BEFE011C
	global_atomic_pk_add_f16 v88, v73, s[8:9] offset:256       // 00000000562C: DD388100 00084958
	s_mov_b64 exec, s[36:37]                                   // 000000005634: BEFE0124
	s_mov_b64 exec, s[30:31]                                   // 000000005638: BEFE011E
	global_atomic_pk_add_f16 v90, v74, s[8:9]                  // 00000000563C: DD388000 00084A5A
	s_mov_b64 exec, s[36:37]                                   // 000000005644: BEFE0124
	s_mov_b64 exec, s[30:31]                                   // 000000005648: BEFE011E
	global_atomic_pk_add_f16 v90, v75, s[8:9] offset:256       // 00000000564C: DD388100 00084B5A
	s_mov_b64 exec, s[36:37]                                   // 000000005654: BEFE0124
	s_mov_b64 exec, s[32:33]                                   // 000000005658: BEFE0120
	global_atomic_pk_add_f16 v92, v76, s[8:9]                  // 00000000565C: DD388000 00084C5C
	s_mov_b64 exec, s[36:37]                                   // 000000005664: BEFE0124
	s_mov_b64 exec, s[32:33]                                   // 000000005668: BEFE0120
	global_atomic_pk_add_f16 v92, v77, s[8:9] offset:256       // 00000000566C: DD388100 00084D5C
	s_mov_b64 exec, s[36:37]                                   // 000000005674: BEFE0124
	s_mov_b64 exec, s[34:35]                                   // 000000005678: BEFE0122
	global_atomic_pk_add_f16 v94, v78, s[8:9]                  // 00000000567C: DD388000 00084E5E
	s_mov_b64 exec, s[36:37]                                   // 000000005684: BEFE0124
	s_mov_b64 exec, s[34:35]                                   // 000000005688: BEFE0122
	global_atomic_pk_add_f16 v94, v79, s[8:9] offset:256       // 00000000568C: DD388100 00084F5E
	s_mov_b64 exec, s[36:37]                                   // 000000005694: BEFE0124
	s_add_u32 s8, s59, s8                                      // 000000005698: 8008083B
	s_addc_u32 s9, 0, s9                                       // 00000000569C: 82090980
	s_addk_i32 s80, 0x100                                      // 0000000056A0: B7500100
	s_cmp_lt_i32 s80, s81                                      // 0000000056A4: BF045150
	s_cbranch_scc0 label_0C90                                  // 0000000056A8: BF840265
	s_waitcnt vmcnt(25)                                        // 0000000056AC: BF8C4F79
	s_barrier                                                  // 0000000056B0: BF8A0000
	v_mfma_f32_16x16x32_fp8_fp8 v[184:187], a[48:49], v[128:129], 0// 0000000056B4: D3F300B8 0A030130
	v_mfma_f32_16x16x32_fp8_fp8 v[184:187], a[50:51], v[130:131], v[184:187]// 0000000056BC: D3F300B8 0EE30532
	buffer_load_dwordx4 a[0:3], v35, s[12:15], 0 offen         // 0000000056C4: E05C1000 80830023
	v_mfma_f32_16x16x32_fp8_fp8 v[188:191], a[48:49], v[140:141], 0// 0000000056CC: D3F300BC 0A031930
	v_mfma_f32_16x16x32_fp8_fp8 v[188:191], a[50:51], v[142:143], v[188:191]// 0000000056D4: D3F300BC 0EF31D32
	v_mfma_f32_16x16x32_fp8_fp8 v[192:195], a[52:53], v[128:129], 0// 0000000056DC: D3F300C0 0A030134
	v_mfma_f32_16x16x32_fp8_fp8 v[192:195], a[54:55], v[130:131], v[192:195]// 0000000056E4: D3F300C0 0F030536
	buffer_load_dwordx4 a[4:7], v36, s[12:15], 0 offen         // 0000000056EC: E05C1000 80830424
	v_mfma_f32_16x16x32_fp8_fp8 v[196:199], a[52:53], v[140:141], 0// 0000000056F4: D3F300C4 0A031934
	v_mfma_f32_16x16x32_fp8_fp8 v[196:199], a[54:55], v[142:143], v[196:199]// 0000000056FC: D3F300C4 0F131D36
	v_mfma_f32_16x16x32_fp8_fp8 v[200:203], a[56:57], v[128:129], 0// 000000005704: D3F300C8 0A030138
	v_mfma_f32_16x16x32_fp8_fp8 v[200:203], a[58:59], v[130:131], v[200:203]// 00000000570C: D3F300C8 0F23053A
	buffer_load_dwordx4 a[8:11], v37, s[12:15], 0 offen        // 000000005714: E05C1000 80830825
	v_mfma_f32_16x16x32_fp8_fp8 v[204:207], a[56:57], v[140:141], 0// 00000000571C: D3F300CC 0A031938
	v_mfma_f32_16x16x32_fp8_fp8 v[204:207], a[58:59], v[142:143], v[204:207]// 000000005724: D3F300CC 0F331D3A
	v_mfma_f32_16x16x32_fp8_fp8 v[208:211], a[60:61], v[128:129], 0// 00000000572C: D3F300D0 0A03013C
	v_mfma_f32_16x16x32_fp8_fp8 v[208:211], a[62:63], v[130:131], v[208:211]// 000000005734: D3F300D0 0F43053E
	buffer_load_dwordx4 a[12:15], v38, s[12:15], 0 offen       // 00000000573C: E05C1000 80830C26
	s_add_u32 s12, s78, s12                                    // 000000005744: 800C0C4E
	s_addc_u32 s13, 0, s13                                     // 000000005748: 820D0D80
	v_mfma_f32_16x16x32_fp8_fp8 v[212:215], a[60:61], v[140:141], 0// 00000000574C: D3F300D4 0A03193C
	v_mfma_f32_16x16x32_fp8_fp8 v[212:215], a[62:63], v[142:143], v[212:215]// 000000005754: D3F300D4 0F531D3E
	s_waitcnt vmcnt(25)                                        // 00000000575C: BF8C4F79
	v_mfma_f32_16x16x32_fp8_fp8 v[184:187], a[64:65], v[132:133], v[184:187]// 000000005760: D3F300B8 0EE30940
	v_mfma_f32_16x16x32_fp8_fp8 v[184:187], a[66:67], v[134:135], v[184:187]// 000000005768: D3F300B8 0EE30D42
	buffer_load_dwordx4 a[16:19], v35, s[12:15], 0 offen       // 000000005770: E05C1000 80831023
	v_mfma_f32_16x16x32_fp8_fp8 v[188:191], a[64:65], v[144:145], v[188:191]// 000000005778: D3F300BC 0EF32140
	v_mfma_f32_16x16x32_fp8_fp8 v[188:191], a[66:67], v[146:147], v[188:191]// 000000005780: D3F300BC 0EF32542
	v_mfma_f32_16x16x32_fp8_fp8 v[192:195], a[68:69], v[132:133], v[192:195]// 000000005788: D3F300C0 0F030944
	v_mfma_f32_16x16x32_fp8_fp8 v[192:195], a[70:71], v[134:135], v[192:195]// 000000005790: D3F300C0 0F030D46
	buffer_load_dwordx4 a[20:23], v36, s[12:15], 0 offen       // 000000005798: E05C1000 80831424
	v_mfma_f32_16x16x32_fp8_fp8 v[196:199], a[68:69], v[144:145], v[196:199]// 0000000057A0: D3F300C4 0F132144
	v_mfma_f32_16x16x32_fp8_fp8 v[196:199], a[70:71], v[146:147], v[196:199]// 0000000057A8: D3F300C4 0F132546
	v_mfma_f32_16x16x32_fp8_fp8 v[200:203], a[72:73], v[132:133], v[200:203]// 0000000057B0: D3F300C8 0F230948
	v_mfma_f32_16x16x32_fp8_fp8 v[200:203], a[74:75], v[134:135], v[200:203]// 0000000057B8: D3F300C8 0F230D4A
	buffer_load_dwordx4 a[24:27], v37, s[12:15], 0 offen       // 0000000057C0: E05C1000 80831825
	v_mfma_f32_16x16x32_fp8_fp8 v[204:207], a[72:73], v[144:145], v[204:207]// 0000000057C8: D3F300CC 0F332148
	v_mfma_f32_16x16x32_fp8_fp8 v[204:207], a[74:75], v[146:147], v[204:207]// 0000000057D0: D3F300CC 0F33254A
	v_mfma_f32_16x16x32_fp8_fp8 v[208:211], a[76:77], v[132:133], v[208:211]// 0000000057D8: D3F300D0 0F43094C
	v_mfma_f32_16x16x32_fp8_fp8 v[208:211], a[78:79], v[134:135], v[208:211]// 0000000057E0: D3F300D0 0F430D4E
	buffer_load_dwordx4 a[28:31], v38, s[12:15], 0 offen       // 0000000057E8: E05C1000 80831C26
	s_add_u32 s12, s78, s12                                    // 0000000057F0: 800C0C4E
	s_addc_u32 s13, 0, s13                                     // 0000000057F4: 820D0D80
	v_mfma_f32_16x16x32_fp8_fp8 v[212:215], a[76:77], v[144:145], v[212:215]// 0000000057F8: D3F300D4 0F53214C
	v_mfma_f32_16x16x32_fp8_fp8 v[212:215], a[78:79], v[146:147], v[212:215]// 000000005800: D3F300D4 0F53254E
	s_waitcnt vmcnt(24)                                        // 000000005808: BF8C4F78
	v_mfma_f32_16x16x32_fp8_fp8 v[184:187], a[80:81], v[136:137], v[184:187]// 00000000580C: D3F300B8 0EE31150
	v_mfma_f32_16x16x32_fp8_fp8 v[184:187], a[82:83], v[138:139], v[184:187]// 000000005814: D3F300B8 0EE31552
	buffer_load_dwordx4 a[32:35], v35, s[12:15], 0 offen       // 00000000581C: E05C1000 80832023
	v_mfma_f32_16x16x32_fp8_fp8 v[188:191], a[80:81], v[148:149], v[188:191]// 000000005824: D3F300BC 0EF32950
	v_mfma_f32_16x16x32_fp8_fp8 v[188:191], a[82:83], v[150:151], v[188:191]// 00000000582C: D3F300BC 0EF32D52
	buffer_load_dword v11, v5, s[16:19], 0 offen               // 000000005834: E0501000 80040B05
	v_mfma_f32_16x16x32_fp8_fp8 v[192:195], a[84:85], v[136:137], v[192:195]// 00000000583C: D3F300C0 0F031154
	v_mfma_f32_16x16x32_fp8_fp8 v[192:195], a[86:87], v[138:139], v[192:195]// 000000005844: D3F300C0 0F031556
	buffer_load_dwordx4 a[36:39], v36, s[12:15], 0 offen       // 00000000584C: E05C1000 80832424
	v_mfma_f32_16x16x32_fp8_fp8 v[196:199], a[84:85], v[148:149], v[196:199]// 000000005854: D3F300C4 0F132954
	v_mfma_f32_16x16x32_fp8_fp8 v[196:199], a[86:87], v[150:151], v[196:199]// 00000000585C: D3F300C4 0F132D56
	v_mfma_f32_16x16x32_fp8_fp8 v[200:203], a[88:89], v[136:137], v[200:203]// 000000005864: D3F300C8 0F231158
	v_mfma_f32_16x16x32_fp8_fp8 v[200:203], a[90:91], v[138:139], v[200:203]// 00000000586C: D3F300C8 0F23155A
	buffer_load_dwordx4 a[40:43], v37, s[12:15], 0 offen       // 000000005874: E05C1000 80832825
	v_mfma_f32_16x16x32_fp8_fp8 v[204:207], a[88:89], v[148:149], v[204:207]// 00000000587C: D3F300CC 0F332958
	v_mfma_f32_16x16x32_fp8_fp8 v[204:207], a[90:91], v[150:151], v[204:207]// 000000005884: D3F300CC 0F332D5A
	v_mfma_f32_16x16x32_fp8_fp8 v[208:211], a[92:93], v[136:137], v[208:211]// 00000000588C: D3F300D0 0F43115C
	v_mfma_f32_16x16x32_fp8_fp8 v[208:211], a[94:95], v[138:139], v[208:211]// 000000005894: D3F300D0 0F43155E
	buffer_load_dwordx4 a[44:47], v38, s[12:15], 0 offen       // 00000000589C: E05C1000 80832C26
	v_mfma_f32_16x16x32_fp8_fp8 v[212:215], a[92:93], v[148:149], v[212:215]// 0000000058A4: D3F300D4 0F53295C
	v_mfma_f32_16x16x32_fp8_fp8 v[212:215], a[94:95], v[150:151], v[212:215]// 0000000058AC: D3F300D4 0F532D5E
	s_add_u32 s60, 0x200, s80                                  // 0000000058B4: 803C50FF 00000200
	s_cmp_lt_u32 s60, s81                                      // 0000000058BC: BF0A513C
	s_cselect_b32 s56, s56, 0                                  // 0000000058C0: 85388038
	s_cselect_b32 s78, s78, 0                                  // 0000000058C4: 854E804E
	s_cselect_b32 s79, s79, 0                                  // 0000000058C8: 854F804F
	s_add_u32 s12, s56, s12                                    // 0000000058CC: 800C0C38
	s_addc_u32 s13, 0, s13                                     // 0000000058D0: 820D0D80
	s_add_u32 s16, s79, s16                                    // 0000000058D4: 8010104F
	s_addc_u32 s17, 0, s17                                     // 0000000058D8: 82111180
	v_mul_f32_e32 v184, v22, v184                              // 0000000058DC: 0B717116
	v_mul_f32_e32 v185, v22, v185                              // 0000000058E0: 0B737316
	v_mul_f32_e32 v186, v22, v186                              // 0000000058E4: 0B757516
	v_mul_f32_e32 v187, v22, v187                              // 0000000058E8: 0B777716
	v_mul_f32_dpp v184, v12, v184 row_newbcast:0 row_mask:0xf bank_mask:0xf// 0000000058EC: 0B7170FA FF01500C
	v_mul_f32_dpp v185, v12, v185 row_newbcast:1 row_mask:0xf bank_mask:0xf// 0000000058F4: 0B7372FA FF01510C
	v_mul_f32_dpp v186, v12, v186 row_newbcast:2 row_mask:0xf bank_mask:0xf// 0000000058FC: 0B7574FA FF01520C
	v_mul_f32_dpp v187, v12, v187 row_newbcast:3 row_mask:0xf bank_mask:0xf// 000000005904: 0B7776FA FF01530C
	v_mul_f32_e32 v184, v17, v184                              // 00000000590C: 0B717111
	v_mul_f32_e32 v185, v17, v185                              // 000000005910: 0B737311
	v_mul_f32_e32 v186, v17, v186                              // 000000005914: 0B757511
	v_mul_f32_e32 v187, v17, v187                              // 000000005918: 0B777711
	v_mul_f32_e32 v188, v23, v188                              // 00000000591C: 0B797917
	v_mul_f32_e32 v189, v23, v189                              // 000000005920: 0B7B7B17
	v_mul_f32_e32 v190, v23, v190                              // 000000005924: 0B7D7D17
	v_mul_f32_e32 v191, v23, v191                              // 000000005928: 0B7F7F17
	v_mul_f32_dpp v188, v12, v188 row_newbcast:0 row_mask:0xf bank_mask:0xf// 00000000592C: 0B7978FA FF01500C
	v_mul_f32_dpp v189, v12, v189 row_newbcast:1 row_mask:0xf bank_mask:0xf// 000000005934: 0B7B7AFA FF01510C
	v_mul_f32_dpp v190, v12, v190 row_newbcast:2 row_mask:0xf bank_mask:0xf// 00000000593C: 0B7D7CFA FF01520C
	v_mul_f32_dpp v191, v12, v191 row_newbcast:3 row_mask:0xf bank_mask:0xf// 000000005944: 0B7F7EFA FF01530C
	v_mul_f32_e32 v188, v18, v188                              // 00000000594C: 0B797912
	v_mul_f32_e32 v189, v18, v189                              // 000000005950: 0B7B7B12
	v_mul_f32_e32 v190, v18, v190                              // 000000005954: 0B7D7D12
	v_mul_f32_e32 v191, v18, v191                              // 000000005958: 0B7F7F12
	v_mul_f32_e32 v192, v22, v192                              // 00000000595C: 0B818116
	v_mul_f32_e32 v193, v22, v193                              // 000000005960: 0B838316
	v_mul_f32_e32 v194, v22, v194                              // 000000005964: 0B858516
	v_mul_f32_e32 v195, v22, v195                              // 000000005968: 0B878716
	v_mul_f32_dpp v192, v12, v192 row_newbcast:4 row_mask:0xf bank_mask:0xf// 00000000596C: 0B8180FA FF01540C
	v_mul_f32_dpp v193, v12, v193 row_newbcast:5 row_mask:0xf bank_mask:0xf// 000000005974: 0B8382FA FF01550C
	v_mul_f32_dpp v194, v12, v194 row_newbcast:6 row_mask:0xf bank_mask:0xf// 00000000597C: 0B8584FA FF01560C
	v_mul_f32_dpp v195, v12, v195 row_newbcast:7 row_mask:0xf bank_mask:0xf// 000000005984: 0B8786FA FF01570C
	v_mul_f32_e32 v192, v17, v192                              // 00000000598C: 0B818111
	v_mul_f32_e32 v193, v17, v193                              // 000000005990: 0B838311
	v_mul_f32_e32 v194, v17, v194                              // 000000005994: 0B858511
	v_mul_f32_e32 v195, v17, v195                              // 000000005998: 0B878711
	v_mul_f32_e32 v196, v23, v196                              // 00000000599C: 0B898917
	v_mul_f32_e32 v197, v23, v197                              // 0000000059A0: 0B8B8B17
	v_mul_f32_e32 v198, v23, v198                              // 0000000059A4: 0B8D8D17
	v_mul_f32_e32 v199, v23, v199                              // 0000000059A8: 0B8F8F17
	v_mul_f32_dpp v196, v12, v196 row_newbcast:4 row_mask:0xf bank_mask:0xf// 0000000059AC: 0B8988FA FF01540C
	v_mul_f32_dpp v197, v12, v197 row_newbcast:5 row_mask:0xf bank_mask:0xf// 0000000059B4: 0B8B8AFA FF01550C
	v_mul_f32_dpp v198, v12, v198 row_newbcast:6 row_mask:0xf bank_mask:0xf// 0000000059BC: 0B8D8CFA FF01560C
	v_mul_f32_dpp v199, v12, v199 row_newbcast:7 row_mask:0xf bank_mask:0xf// 0000000059C4: 0B8F8EFA FF01570C
	v_mul_f32_e32 v196, v18, v196                              // 0000000059CC: 0B898912
	v_mul_f32_e32 v197, v18, v197                              // 0000000059D0: 0B8B8B12
	v_mul_f32_e32 v198, v18, v198                              // 0000000059D4: 0B8D8D12
	v_mul_f32_e32 v199, v18, v199                              // 0000000059D8: 0B8F8F12
	v_mul_f32_e32 v200, v22, v200                              // 0000000059DC: 0B919116
	v_mul_f32_e32 v201, v22, v201                              // 0000000059E0: 0B939316
	v_mul_f32_e32 v202, v22, v202                              // 0000000059E4: 0B959516
	v_mul_f32_e32 v203, v22, v203                              // 0000000059E8: 0B979716
	v_mul_f32_dpp v200, v12, v200 row_newbcast:8 row_mask:0xf bank_mask:0xf// 0000000059EC: 0B9190FA FF01580C
	v_mul_f32_dpp v201, v12, v201 row_newbcast:9 row_mask:0xf bank_mask:0xf// 0000000059F4: 0B9392FA FF01590C
	v_mul_f32_dpp v202, v12, v202 row_newbcast:10 row_mask:0xf bank_mask:0xf// 0000000059FC: 0B9594FA FF015A0C
	v_mul_f32_dpp v203, v12, v203 row_newbcast:11 row_mask:0xf bank_mask:0xf// 000000005A04: 0B9796FA FF015B0C
	v_mul_f32_e32 v200, v17, v200                              // 000000005A0C: 0B919111
	v_mul_f32_e32 v201, v17, v201                              // 000000005A10: 0B939311
	v_mul_f32_e32 v202, v17, v202                              // 000000005A14: 0B959511
	v_mul_f32_e32 v203, v17, v203                              // 000000005A18: 0B979711
	v_mul_f32_e32 v204, v23, v204                              // 000000005A1C: 0B999917
	v_mul_f32_e32 v205, v23, v205                              // 000000005A20: 0B9B9B17
	v_mul_f32_e32 v206, v23, v206                              // 000000005A24: 0B9D9D17
	v_mul_f32_e32 v207, v23, v207                              // 000000005A28: 0B9F9F17
	v_mul_f32_dpp v204, v12, v204 row_newbcast:8 row_mask:0xf bank_mask:0xf// 000000005A2C: 0B9998FA FF01580C
	v_mul_f32_dpp v205, v12, v205 row_newbcast:9 row_mask:0xf bank_mask:0xf// 000000005A34: 0B9B9AFA FF01590C
	v_mul_f32_dpp v206, v12, v206 row_newbcast:10 row_mask:0xf bank_mask:0xf// 000000005A3C: 0B9D9CFA FF015A0C
	v_mul_f32_dpp v207, v12, v207 row_newbcast:11 row_mask:0xf bank_mask:0xf// 000000005A44: 0B9F9EFA FF015B0C
	v_mul_f32_e32 v204, v18, v204                              // 000000005A4C: 0B999912
	v_mul_f32_e32 v205, v18, v205                              // 000000005A50: 0B9B9B12
	v_mul_f32_e32 v206, v18, v206                              // 000000005A54: 0B9D9D12
	v_mul_f32_e32 v207, v18, v207                              // 000000005A58: 0B9F9F12
	v_mul_f32_e32 v208, v22, v208                              // 000000005A5C: 0BA1A116
	v_mul_f32_e32 v209, v22, v209                              // 000000005A60: 0BA3A316
	v_mul_f32_e32 v210, v22, v210                              // 000000005A64: 0BA5A516
	v_mul_f32_e32 v211, v22, v211                              // 000000005A68: 0BA7A716
	v_mul_f32_dpp v208, v12, v208 row_newbcast:12 row_mask:0xf bank_mask:0xf// 000000005A6C: 0BA1A0FA FF015C0C
	v_mul_f32_dpp v209, v12, v209 row_newbcast:13 row_mask:0xf bank_mask:0xf// 000000005A74: 0BA3A2FA FF015D0C
	v_mul_f32_dpp v210, v12, v210 row_newbcast:14 row_mask:0xf bank_mask:0xf// 000000005A7C: 0BA5A4FA FF015E0C
	v_mul_f32_dpp v211, v12, v211 row_newbcast:15 row_mask:0xf bank_mask:0xf// 000000005A84: 0BA7A6FA FF015F0C
	v_mul_f32_e32 v208, v17, v208                              // 000000005A8C: 0BA1A111
	v_mul_f32_e32 v209, v17, v209                              // 000000005A90: 0BA3A311
	v_mul_f32_e32 v210, v17, v210                              // 000000005A94: 0BA5A511
	v_mul_f32_e32 v211, v17, v211                              // 000000005A98: 0BA7A711
	v_mul_f32_e32 v212, v23, v212                              // 000000005A9C: 0BA9A917
	v_mul_f32_e32 v213, v23, v213                              // 000000005AA0: 0BABAB17
	v_mul_f32_e32 v214, v23, v214                              // 000000005AA4: 0BADAD17
	v_mul_f32_e32 v215, v23, v215                              // 000000005AA8: 0BAFAF17
	v_mul_f32_dpp v212, v12, v212 row_newbcast:12 row_mask:0xf bank_mask:0xf// 000000005AAC: 0BA9A8FA FF015C0C
	v_mul_f32_dpp v213, v12, v213 row_newbcast:13 row_mask:0xf bank_mask:0xf// 000000005AB4: 0BABAAFA FF015D0C
	v_mul_f32_dpp v214, v12, v214 row_newbcast:14 row_mask:0xf bank_mask:0xf// 000000005ABC: 0BADACFA FF015E0C
	v_mul_f32_dpp v215, v12, v215 row_newbcast:15 row_mask:0xf bank_mask:0xf// 000000005AC4: 0BAFAEFA FF015F0C
	v_mul_f32_e32 v212, v18, v212                              // 000000005ACC: 0BA9A912
	v_mul_f32_e32 v213, v18, v213                              // 000000005AD0: 0BABAB12
	v_mul_f32_e32 v214, v18, v214                              // 000000005AD4: 0BADAD12
	v_mul_f32_e32 v215, v18, v215                              // 000000005AD8: 0BAFAF12
	v_cmp_u_f32_e64 s[48:49], v184, v184                       // 000000005ADC: D0480030 000371B8
	v_add3_u32 v39, v184, v42, 1                               // 000000005AE4: D1FF0027 020655B8
	v_cndmask_b32_e64 v44, v39, v41, s[48:49]                  // 000000005AEC: D100002C 00C25327
	v_cmp_u_f32_e64 s[48:49], v185, v185                       // 000000005AF4: D0480030 000373B9
	v_add3_u32 v39, v185, v42, 1                               // 000000005AFC: D1FF0027 020655B9
	v_cndmask_b32_e64 v45, v39, v41, s[48:49]                  // 000000005B04: D100002D 00C25327
	v_perm_b32 v184, v45, v44, s52                             // 000000005B0C: D1ED00B8 00D2592D
	v_cmp_u_f32_e64 s[48:49], v186, v186                       // 000000005B14: D0480030 000375BA
	v_add3_u32 v39, v186, v42, 1                               // 000000005B1C: D1FF0027 020655BA
	v_cndmask_b32_e64 v44, v39, v41, s[48:49]                  // 000000005B24: D100002C 00C25327
	v_cmp_u_f32_e64 s[48:49], v187, v187                       // 000000005B2C: D0480030 000377BB
	v_add3_u32 v39, v187, v42, 1                               // 000000005B34: D1FF0027 020655BB
	v_cndmask_b32_e64 v45, v39, v41, s[48:49]                  // 000000005B3C: D100002D 00C25327
	v_perm_b32 v185, v45, v44, s52                             // 000000005B44: D1ED00B9 00D2592D
	v_cmp_u_f32_e64 s[48:49], v188, v188                       // 000000005B4C: D0480030 000379BC
	v_add3_u32 v39, v188, v42, 1                               // 000000005B54: D1FF0027 020655BC
	v_cndmask_b32_e64 v44, v39, v41, s[48:49]                  // 000000005B5C: D100002C 00C25327
	v_cmp_u_f32_e64 s[48:49], v189, v189                       // 000000005B64: D0480030 00037BBD
	v_add3_u32 v39, v189, v42, 1                               // 000000005B6C: D1FF0027 020655BD
	v_cndmask_b32_e64 v45, v39, v41, s[48:49]                  // 000000005B74: D100002D 00C25327
	v_perm_b32 v186, v45, v44, s52                             // 000000005B7C: D1ED00BA 00D2592D
	v_cmp_u_f32_e64 s[48:49], v190, v190                       // 000000005B84: D0480030 00037DBE
	v_add3_u32 v39, v190, v42, 1                               // 000000005B8C: D1FF0027 020655BE
	v_cndmask_b32_e64 v44, v39, v41, s[48:49]                  // 000000005B94: D100002C 00C25327
	v_cmp_u_f32_e64 s[48:49], v191, v191                       // 000000005B9C: D0480030 00037FBF
	v_add3_u32 v39, v191, v42, 1                               // 000000005BA4: D1FF0027 020655BF
	v_cndmask_b32_e64 v45, v39, v41, s[48:49]                  // 000000005BAC: D100002D 00C25327
	v_perm_b32 v187, v45, v44, s52                             // 000000005BB4: D1ED00BB 00D2592D
	v_cmp_u_f32_e64 s[48:49], v192, v192                       // 000000005BBC: D0480030 000381C0
	v_add3_u32 v39, v192, v42, 1                               // 000000005BC4: D1FF0027 020655C0
	v_cndmask_b32_e64 v44, v39, v41, s[48:49]                  // 000000005BCC: D100002C 00C25327
	v_cmp_u_f32_e64 s[48:49], v193, v193                       // 000000005BD4: D0480030 000383C1
	v_add3_u32 v39, v193, v42, 1                               // 000000005BDC: D1FF0027 020655C1
	v_cndmask_b32_e64 v45, v39, v41, s[48:49]                  // 000000005BE4: D100002D 00C25327
	v_perm_b32 v188, v45, v44, s52                             // 000000005BEC: D1ED00BC 00D2592D
	v_cmp_u_f32_e64 s[48:49], v194, v194                       // 000000005BF4: D0480030 000385C2
	v_add3_u32 v39, v194, v42, 1                               // 000000005BFC: D1FF0027 020655C2
	v_cndmask_b32_e64 v44, v39, v41, s[48:49]                  // 000000005C04: D100002C 00C25327
	v_cmp_u_f32_e64 s[48:49], v195, v195                       // 000000005C0C: D0480030 000387C3
	v_add3_u32 v39, v195, v42, 1                               // 000000005C14: D1FF0027 020655C3
	v_cndmask_b32_e64 v45, v39, v41, s[48:49]                  // 000000005C1C: D100002D 00C25327
	v_perm_b32 v189, v45, v44, s52                             // 000000005C24: D1ED00BD 00D2592D
	v_cmp_u_f32_e64 s[48:49], v196, v196                       // 000000005C2C: D0480030 000389C4
	v_add3_u32 v39, v196, v42, 1                               // 000000005C34: D1FF0027 020655C4
	v_cndmask_b32_e64 v44, v39, v41, s[48:49]                  // 000000005C3C: D100002C 00C25327
	v_cmp_u_f32_e64 s[48:49], v197, v197                       // 000000005C44: D0480030 00038BC5
	v_add3_u32 v39, v197, v42, 1                               // 000000005C4C: D1FF0027 020655C5
	v_cndmask_b32_e64 v45, v39, v41, s[48:49]                  // 000000005C54: D100002D 00C25327
	v_perm_b32 v190, v45, v44, s52                             // 000000005C5C: D1ED00BE 00D2592D
	v_cmp_u_f32_e64 s[48:49], v198, v198                       // 000000005C64: D0480030 00038DC6
	v_add3_u32 v39, v198, v42, 1                               // 000000005C6C: D1FF0027 020655C6
	v_cndmask_b32_e64 v44, v39, v41, s[48:49]                  // 000000005C74: D100002C 00C25327
	v_cmp_u_f32_e64 s[48:49], v199, v199                       // 000000005C7C: D0480030 00038FC7
	v_add3_u32 v39, v199, v42, 1                               // 000000005C84: D1FF0027 020655C7
	v_cndmask_b32_e64 v45, v39, v41, s[48:49]                  // 000000005C8C: D100002D 00C25327
	v_perm_b32 v191, v45, v44, s52                             // 000000005C94: D1ED00BF 00D2592D
	v_cmp_u_f32_e64 s[48:49], v200, v200                       // 000000005C9C: D0480030 000391C8
	v_add3_u32 v39, v200, v42, 1                               // 000000005CA4: D1FF0027 020655C8
	v_cndmask_b32_e64 v44, v39, v41, s[48:49]                  // 000000005CAC: D100002C 00C25327
	v_cmp_u_f32_e64 s[48:49], v201, v201                       // 000000005CB4: D0480030 000393C9
	v_add3_u32 v39, v201, v42, 1                               // 000000005CBC: D1FF0027 020655C9
	v_cndmask_b32_e64 v45, v39, v41, s[48:49]                  // 000000005CC4: D100002D 00C25327
	v_perm_b32 v192, v45, v44, s52                             // 000000005CCC: D1ED00C0 00D2592D
	v_cmp_u_f32_e64 s[48:49], v202, v202                       // 000000005CD4: D0480030 000395CA
	v_add3_u32 v39, v202, v42, 1                               // 000000005CDC: D1FF0027 020655CA
	v_cndmask_b32_e64 v44, v39, v41, s[48:49]                  // 000000005CE4: D100002C 00C25327
	v_cmp_u_f32_e64 s[48:49], v203, v203                       // 000000005CEC: D0480030 000397CB
	v_add3_u32 v39, v203, v42, 1                               // 000000005CF4: D1FF0027 020655CB
	v_cndmask_b32_e64 v45, v39, v41, s[48:49]                  // 000000005CFC: D100002D 00C25327
	v_perm_b32 v193, v45, v44, s52                             // 000000005D04: D1ED00C1 00D2592D
	v_cmp_u_f32_e64 s[48:49], v204, v204                       // 000000005D0C: D0480030 000399CC
	v_add3_u32 v39, v204, v42, 1                               // 000000005D14: D1FF0027 020655CC
	v_cndmask_b32_e64 v44, v39, v41, s[48:49]                  // 000000005D1C: D100002C 00C25327
	v_cmp_u_f32_e64 s[48:49], v205, v205                       // 000000005D24: D0480030 00039BCD
	v_add3_u32 v39, v205, v42, 1                               // 000000005D2C: D1FF0027 020655CD
	v_cndmask_b32_e64 v45, v39, v41, s[48:49]                  // 000000005D34: D100002D 00C25327
	v_perm_b32 v194, v45, v44, s52                             // 000000005D3C: D1ED00C2 00D2592D
	v_cmp_u_f32_e64 s[48:49], v206, v206                       // 000000005D44: D0480030 00039DCE
	v_add3_u32 v39, v206, v42, 1                               // 000000005D4C: D1FF0027 020655CE
	v_cndmask_b32_e64 v44, v39, v41, s[48:49]                  // 000000005D54: D100002C 00C25327
	v_cmp_u_f32_e64 s[48:49], v207, v207                       // 000000005D5C: D0480030 00039FCF
	v_add3_u32 v39, v207, v42, 1                               // 000000005D64: D1FF0027 020655CF
	v_cndmask_b32_e64 v45, v39, v41, s[48:49]                  // 000000005D6C: D100002D 00C25327
	v_perm_b32 v195, v45, v44, s52                             // 000000005D74: D1ED00C3 00D2592D
	v_cmp_u_f32_e64 s[48:49], v208, v208                       // 000000005D7C: D0480030 0003A1D0
	v_add3_u32 v39, v208, v42, 1                               // 000000005D84: D1FF0027 020655D0
	v_cndmask_b32_e64 v44, v39, v41, s[48:49]                  // 000000005D8C: D100002C 00C25327
	v_cmp_u_f32_e64 s[48:49], v209, v209                       // 000000005D94: D0480030 0003A3D1
	v_add3_u32 v39, v209, v42, 1                               // 000000005D9C: D1FF0027 020655D1
	v_cndmask_b32_e64 v45, v39, v41, s[48:49]                  // 000000005DA4: D100002D 00C25327
	v_perm_b32 v196, v45, v44, s52                             // 000000005DAC: D1ED00C4 00D2592D
	v_cmp_u_f32_e64 s[48:49], v210, v210                       // 000000005DB4: D0480030 0003A5D2
	v_add3_u32 v39, v210, v42, 1                               // 000000005DBC: D1FF0027 020655D2
	v_cndmask_b32_e64 v44, v39, v41, s[48:49]                  // 000000005DC4: D100002C 00C25327
	v_cmp_u_f32_e64 s[48:49], v211, v211                       // 000000005DCC: D0480030 0003A7D3
	v_add3_u32 v39, v211, v42, 1                               // 000000005DD4: D1FF0027 020655D3
	v_cndmask_b32_e64 v45, v39, v41, s[48:49]                  // 000000005DDC: D100002D 00C25327
	v_perm_b32 v197, v45, v44, s52                             // 000000005DE4: D1ED00C5 00D2592D
	v_cmp_u_f32_e64 s[48:49], v212, v212                       // 000000005DEC: D0480030 0003A9D4
	v_add3_u32 v39, v212, v42, 1                               // 000000005DF4: D1FF0027 020655D4
	v_cndmask_b32_e64 v44, v39, v41, s[48:49]                  // 000000005DFC: D100002C 00C25327
	v_cmp_u_f32_e64 s[48:49], v213, v213                       // 000000005E04: D0480030 0003ABD5
	v_add3_u32 v39, v213, v42, 1                               // 000000005E0C: D1FF0027 020655D5
	v_cndmask_b32_e64 v45, v39, v41, s[48:49]                  // 000000005E14: D100002D 00C25327
	v_perm_b32 v198, v45, v44, s52                             // 000000005E1C: D1ED00C6 00D2592D
	v_cmp_u_f32_e64 s[48:49], v214, v214                       // 000000005E24: D0480030 0003ADD6
	v_add3_u32 v39, v214, v42, 1                               // 000000005E2C: D1FF0027 020655D6
	v_cndmask_b32_e64 v44, v39, v41, s[48:49]                  // 000000005E34: D100002C 00C25327
	v_cmp_u_f32_e64 s[48:49], v215, v215                       // 000000005E3C: D0480030 0003AFD7
	v_add3_u32 v39, v215, v42, 1                               // 000000005E44: D1FF0027 020655D7
	v_cndmask_b32_e64 v45, v39, v41, s[48:49]                  // 000000005E4C: D100002D 00C25327
	v_perm_b32 v199, v45, v44, s52                             // 000000005E54: D1ED00C7 00D2592D
	ds_write_b64 v3, v[184:185] offset:24832                   // 000000005E5C: D89A6100 0000B803
	ds_write_b64 v3, v[186:187] offset:33536                   // 000000005E64: D89A8300 0000BA03
	ds_write_b64 v3, v[188:189] offset:27008                   // 000000005E6C: D89A6980 0000BC03
	ds_write_b64 v3, v[190:191] offset:35712                   // 000000005E74: D89A8B80 0000BE03
	ds_write_b64 v3, v[192:193] offset:29184                   // 000000005E7C: D89A7200 0000C003
	ds_write_b64 v3, v[194:195] offset:37888                   // 000000005E84: D89A9400 0000C203
	ds_write_b64 v3, v[196:197] offset:31360                   // 000000005E8C: D89A7A80 0000C403
	ds_write_b64 v3, v[198:199] offset:40064                   // 000000005E94: D89A9C80 0000C603
	s_waitcnt lgkmcnt(0)                                       // 000000005E9C: BF8CC07F
	s_barrier                                                  // 000000005EA0: BF8A0000
	ds_read_b32 v64, v4 offset:24832                           // 000000005EA4: D86C6100 40000004
	ds_read_b32 v65, v4 offset:29184                           // 000000005EAC: D86C7200 41000004
	ds_read_b32 v66, v4 offset:24864                           // 000000005EB4: D86C6120 42000004
	ds_read_b32 v67, v4 offset:29216                           // 000000005EBC: D86C7220 43000004
	ds_read_b32 v68, v4 offset:24896                           // 000000005EC4: D86C6140 44000004
	ds_read_b32 v69, v4 offset:29248                           // 000000005ECC: D86C7240 45000004
	ds_read_b32 v70, v4 offset:24928                           // 000000005ED4: D86C6160 46000004
	ds_read_b32 v71, v4 offset:29280                           // 000000005EDC: D86C7260 47000004
	ds_read_b32 v72, v4 offset:33536                           // 000000005EE4: D86C8300 48000004
	ds_read_b32 v73, v4 offset:37888                           // 000000005EEC: D86C9400 49000004
	ds_read_b32 v74, v4 offset:33568                           // 000000005EF4: D86C8320 4A000004
	ds_read_b32 v75, v4 offset:37920                           // 000000005EFC: D86C9420 4B000004
	ds_read_b32 v76, v4 offset:33600                           // 000000005F04: D86C8340 4C000004
	ds_read_b32 v77, v4 offset:37952                           // 000000005F0C: D86C9440 4D000004
	ds_read_b32 v78, v4 offset:33632                           // 000000005F14: D86C8360 4E000004
	ds_read_b32 v79, v4 offset:37984                           // 000000005F1C: D86C9460 4F000004
	s_waitcnt lgkmcnt(0)                                       // 000000005F24: BF8CC07F
	s_mov_b64 exec, s[20:21]                                   // 000000005F28: BEFE0114
	global_atomic_pk_add_f16 v80, v64, s[8:9]                  // 000000005F2C: DD388000 00084050
	s_mov_b64 exec, s[36:37]                                   // 000000005F34: BEFE0124
	s_mov_b64 exec, s[20:21]                                   // 000000005F38: BEFE0114
	global_atomic_pk_add_f16 v80, v65, s[8:9] offset:256       // 000000005F3C: DD388100 00084150
	s_mov_b64 exec, s[36:37]                                   // 000000005F44: BEFE0124
	s_mov_b64 exec, s[22:23]                                   // 000000005F48: BEFE0116
	global_atomic_pk_add_f16 v82, v66, s[8:9]                  // 000000005F4C: DD388000 00084252
	s_mov_b64 exec, s[36:37]                                   // 000000005F54: BEFE0124
	s_mov_b64 exec, s[22:23]                                   // 000000005F58: BEFE0116
	global_atomic_pk_add_f16 v82, v67, s[8:9] offset:256       // 000000005F5C: DD388100 00084352
	s_mov_b64 exec, s[36:37]                                   // 000000005F64: BEFE0124
	s_mov_b64 exec, s[24:25]                                   // 000000005F68: BEFE0118
	global_atomic_pk_add_f16 v84, v68, s[8:9]                  // 000000005F6C: DD388000 00084454
	s_mov_b64 exec, s[36:37]                                   // 000000005F74: BEFE0124
	s_mov_b64 exec, s[24:25]                                   // 000000005F78: BEFE0118
	global_atomic_pk_add_f16 v84, v69, s[8:9] offset:256       // 000000005F7C: DD388100 00084554
	s_mov_b64 exec, s[36:37]                                   // 000000005F84: BEFE0124
	s_mov_b64 exec, s[26:27]                                   // 000000005F88: BEFE011A
	global_atomic_pk_add_f16 v86, v70, s[8:9]                  // 000000005F8C: DD388000 00084656
	s_mov_b64 exec, s[36:37]                                   // 000000005F94: BEFE0124
	s_mov_b64 exec, s[26:27]                                   // 000000005F98: BEFE011A
	global_atomic_pk_add_f16 v86, v71, s[8:9] offset:256       // 000000005F9C: DD388100 00084756
	s_mov_b64 exec, s[36:37]                                   // 000000005FA4: BEFE0124
	s_mov_b64 exec, s[28:29]                                   // 000000005FA8: BEFE011C
	global_atomic_pk_add_f16 v88, v72, s[8:9]                  // 000000005FAC: DD388000 00084858
	s_mov_b64 exec, s[36:37]                                   // 000000005FB4: BEFE0124
	s_mov_b64 exec, s[28:29]                                   // 000000005FB8: BEFE011C
	global_atomic_pk_add_f16 v88, v73, s[8:9] offset:256       // 000000005FBC: DD388100 00084958
	s_mov_b64 exec, s[36:37]                                   // 000000005FC4: BEFE0124
	s_mov_b64 exec, s[30:31]                                   // 000000005FC8: BEFE011E
	global_atomic_pk_add_f16 v90, v74, s[8:9]                  // 000000005FCC: DD388000 00084A5A
	s_mov_b64 exec, s[36:37]                                   // 000000005FD4: BEFE0124
	s_mov_b64 exec, s[30:31]                                   // 000000005FD8: BEFE011E
	global_atomic_pk_add_f16 v90, v75, s[8:9] offset:256       // 000000005FDC: DD388100 00084B5A
	s_mov_b64 exec, s[36:37]                                   // 000000005FE4: BEFE0124
	s_mov_b64 exec, s[32:33]                                   // 000000005FE8: BEFE0120
	global_atomic_pk_add_f16 v92, v76, s[8:9]                  // 000000005FEC: DD388000 00084C5C
	s_mov_b64 exec, s[36:37]                                   // 000000005FF4: BEFE0124
	s_mov_b64 exec, s[32:33]                                   // 000000005FF8: BEFE0120
	global_atomic_pk_add_f16 v92, v77, s[8:9] offset:256       // 000000005FFC: DD388100 00084D5C
	s_mov_b64 exec, s[36:37]                                   // 000000006004: BEFE0124
	s_mov_b64 exec, s[34:35]                                   // 000000006008: BEFE0122
	global_atomic_pk_add_f16 v94, v78, s[8:9]                  // 00000000600C: DD388000 00084E5E
	s_mov_b64 exec, s[36:37]                                   // 000000006014: BEFE0124
	s_mov_b64 exec, s[34:35]                                   // 000000006018: BEFE0122
	global_atomic_pk_add_f16 v94, v79, s[8:9] offset:256       // 00000000601C: DD388100 00084F5E
	s_mov_b64 exec, s[36:37]                                   // 000000006024: BEFE0124
	s_add_u32 s8, s59, s8                                      // 000000006028: 8008083B
	s_addc_u32 s9, 0, s9                                       // 00000000602C: 82090980
	s_addk_i32 s80, 0x100                                      // 000000006030: B7500100
	s_cmp_lt_i32 s80, s81                                      // 000000006034: BF045150
	s_cbranch_scc0 label_0C90                                  // 000000006038: BF840001
	s_branch label_07C7                                        // 00000000603C: BF82FB37

0000000000006040 <label_0C90>:
	s_nop 0                                                    // 000000006040: BF800000
	s_nop 0                                                    // 000000006044: BF800000
	s_branch label_167C                                        // 000000006048: BF8209E9

000000000000604c <label_0C93>:
	s_waitcnt vmcnt(4) lgkmcnt(0)                              // 00000000604C: BF8C0074
	s_barrier                                                  // 000000006050: BF8A0000
	v_mfma_f32_16x16x32_fp8_fp8 v[128:131], a[0:1], v[152:153], v[128:131]// 000000006054: D3F30080 0E033100
	buffer_load_dwordx4 a[48:51], v32, s[92:95], 0 offen       // 00000000605C: E05C1000 80973020
	v_mfma_f32_16x16x32_fp8_fp8 v[128:131], a[2:3], v[154:155], v[128:131]// 000000006064: D3F30080 0E033502
	v_mfma_f32_16x16x32_fp8_fp8 v[128:131], a[4:5], v[156:157], v[128:131]// 00000000606C: D3F30080 0E033904
	buffer_load_dword v24, s[20:23], 0 offen lds               // 000000006074: E0511000 80050018
	s_add_u32 m0, 0x100, s51                                   // 00000000607C: 807C33FF 00000100
	v_mfma_f32_16x16x32_fp8_fp8 v[128:131], a[6:7], v[158:159], v[128:131]// 000000006084: D3F30080 0E033D06
	v_mfma_f32_16x16x32_fp8_fp8 v[128:131], a[8:9], v[160:161], v[128:131]// 00000000608C: D3F30080 0E034108
	buffer_load_dwordx4 a[52:55], v32, s[92:95], 0 offen offset:1024// 000000006094: E05C1400 80973420
	v_mfma_f32_16x16x32_fp8_fp8 v[128:131], a[10:11], v[162:163], v[128:131]// 00000000609C: D3F30080 0E03450A
	v_mfma_f32_16x16x32_fp8_fp8 v[128:131], a[12:13], v[164:165], v[128:131]// 0000000060A4: D3F30080 0E03490C
	buffer_load_dword v25, s[20:23], 0 offen lds               // 0000000060AC: E0511000 80050019
	s_add_u32 m0, 0x200, s51                                   // 0000000060B4: 807C33FF 00000200
	v_mfma_f32_16x16x32_fp8_fp8 v[128:131], a[14:15], v[166:167], v[128:131]// 0000000060BC: D3F30080 0E034D0E
	v_mfma_f32_16x16x32_fp8_fp8 v[132:135], a[0:1], v[168:169], v[132:135]// 0000000060C4: D3F30084 0E135100
	buffer_load_dwordx4 a[56:59], v32, s[92:95], 0 offen offset:2048// 0000000060CC: E05C1800 80973820
	v_mfma_f32_16x16x32_fp8_fp8 v[132:135], a[2:3], v[170:171], v[132:135]// 0000000060D4: D3F30084 0E135502
	v_mfma_f32_16x16x32_fp8_fp8 v[132:135], a[4:5], v[172:173], v[132:135]// 0000000060DC: D3F30084 0E135904
	buffer_load_dword v26, s[20:23], 0 offen lds               // 0000000060E4: E0511000 8005001A
	s_add_u32 m0, 0x300, s51                                   // 0000000060EC: 807C33FF 00000300
	v_mfma_f32_16x16x32_fp8_fp8 v[132:135], a[6:7], v[174:175], v[132:135]// 0000000060F4: D3F30084 0E135D06
	v_mfma_f32_16x16x32_fp8_fp8 v[132:135], a[8:9], v[176:177], v[132:135]// 0000000060FC: D3F30084 0E136108
	buffer_load_dwordx4 a[60:63], v32, s[92:95], 0 offen offset:3072// 000000006104: E05C1C00 80973C20
	v_mfma_f32_16x16x32_fp8_fp8 v[132:135], a[10:11], v[178:179], v[132:135]// 00000000610C: D3F30084 0E13650A
	v_mfma_f32_16x16x32_fp8_fp8 v[132:135], a[12:13], v[180:181], v[132:135]// 000000006114: D3F30084 0E13690C
	buffer_load_dword v27, s[20:23], 0 offen lds               // 00000000611C: E0511000 8005001B
	s_add_u32 m0, 0x400, s51                                   // 000000006124: 807C33FF 00000400
	v_mfma_f32_16x16x32_fp8_fp8 v[132:135], a[14:15], v[182:183], v[132:135]// 00000000612C: D3F30084 0E136D0E
	v_mfma_f32_16x16x32_fp8_fp8 v[136:139], a[16:17], v[152:153], v[136:139]// 000000006134: D3F30088 0E233110
	buffer_load_dwordx4 a[64:67], v33, s[92:95], 0 offen       // 00000000613C: E05C1000 80974021
	v_mfma_f32_16x16x32_fp8_fp8 v[136:139], a[18:19], v[154:155], v[136:139]// 000000006144: D3F30088 0E233512
	v_mfma_f32_16x16x32_fp8_fp8 v[136:139], a[20:21], v[156:157], v[136:139]// 00000000614C: D3F30088 0E233914
	buffer_load_dword v28, s[20:23], 0 offen lds               // 000000006154: E0511000 8005001C
	s_add_u32 m0, 0x500, s51                                   // 00000000615C: 807C33FF 00000500
	v_mfma_f32_16x16x32_fp8_fp8 v[136:139], a[22:23], v[158:159], v[136:139]// 000000006164: D3F30088 0E233D16
	v_mfma_f32_16x16x32_fp8_fp8 v[136:139], a[24:25], v[160:161], v[136:139]// 00000000616C: D3F30088 0E234118
	buffer_load_dwordx4 a[68:71], v33, s[92:95], 0 offen offset:1024// 000000006174: E05C1400 80974421
	v_mfma_f32_16x16x32_fp8_fp8 v[136:139], a[26:27], v[162:163], v[136:139]// 00000000617C: D3F30088 0E23451A
	v_mfma_f32_16x16x32_fp8_fp8 v[136:139], a[28:29], v[164:165], v[136:139]// 000000006184: D3F30088 0E23491C
	buffer_load_dword v29, s[20:23], 0 offen lds               // 00000000618C: E0511000 8005001D
	s_add_u32 m0, 0x600, s51                                   // 000000006194: 807C33FF 00000600
	v_mfma_f32_16x16x32_fp8_fp8 v[136:139], a[30:31], v[166:167], v[136:139]// 00000000619C: D3F30088 0E234D1E
	v_mfma_f32_16x16x32_fp8_fp8 v[140:143], a[16:17], v[168:169], v[140:143]// 0000000061A4: D3F3008C 0E335110
	buffer_load_dwordx4 a[72:75], v33, s[92:95], 0 offen offset:2048// 0000000061AC: E05C1800 80974821
	v_mfma_f32_16x16x32_fp8_fp8 v[140:143], a[18:19], v[170:171], v[140:143]// 0000000061B4: D3F3008C 0E335512
	v_mfma_f32_16x16x32_fp8_fp8 v[140:143], a[20:21], v[172:173], v[140:143]// 0000000061BC: D3F3008C 0E335914
	buffer_load_dword v30, s[20:23], 0 offen lds               // 0000000061C4: E0511000 8005001E
	s_add_u32 m0, 0x700, s51                                   // 0000000061CC: 807C33FF 00000700
	v_mfma_f32_16x16x32_fp8_fp8 v[140:143], a[22:23], v[174:175], v[140:143]// 0000000061D4: D3F3008C 0E335D16
	v_mfma_f32_16x16x32_fp8_fp8 v[140:143], a[24:25], v[176:177], v[140:143]// 0000000061DC: D3F3008C 0E336118
	buffer_load_dwordx4 a[76:79], v33, s[92:95], 0 offen offset:3072// 0000000061E4: E05C1C00 80974C21
	v_mfma_f32_16x16x32_fp8_fp8 v[140:143], a[26:27], v[178:179], v[140:143]// 0000000061EC: D3F3008C 0E33651A
	v_mfma_f32_16x16x32_fp8_fp8 v[140:143], a[28:29], v[180:181], v[140:143]// 0000000061F4: D3F3008C 0E33691C
	buffer_load_dword v31, s[20:23], 0 offen lds               // 0000000061FC: E0511000 8005001F
	s_add_u32 m0, 0, s50                                       // 000000006204: 807C3280
	v_mfma_f32_16x16x32_fp8_fp8 v[140:143], a[30:31], v[182:183], v[140:143]// 000000006208: D3F3008C 0E336D1E
	s_waitcnt vmcnt(16)                                        // 000000006210: BF8C4F70
	v_mfma_f32_16x16x32_fp8_fp8 v[144:147], a[32:33], v[152:153], v[144:147]// 000000006214: D3F30090 0E433120
	buffer_load_dwordx4 a[80:83], v34, s[92:95], 0 offen       // 00000000621C: E05C1000 80975022
	v_mfma_f32_16x16x32_fp8_fp8 v[144:147], a[34:35], v[154:155], v[144:147]// 000000006224: D3F30090 0E433522
	v_mfma_f32_16x16x32_fp8_fp8 v[144:147], a[36:37], v[156:157], v[144:147]// 00000000622C: D3F30090 0E433924
	v_mfma_f32_16x16x32_fp8_fp8 v[144:147], a[38:39], v[158:159], v[144:147]// 000000006234: D3F30090 0E433D26
	v_mfma_f32_16x16x32_fp8_fp8 v[144:147], a[40:41], v[160:161], v[144:147]// 00000000623C: D3F30090 0E434128
	buffer_load_dwordx4 a[84:87], v34, s[92:95], 0 offen offset:1024// 000000006244: E05C1400 80975422
	v_mfma_f32_16x16x32_fp8_fp8 v[144:147], a[42:43], v[162:163], v[144:147]// 00000000624C: D3F30090 0E43452A
	v_mfma_f32_16x16x32_fp8_fp8 v[144:147], a[44:45], v[164:165], v[144:147]// 000000006254: D3F30090 0E43492C
	v_mfma_f32_16x16x32_fp8_fp8 v[144:147], a[46:47], v[166:167], v[144:147]// 00000000625C: D3F30090 0E434D2E
	v_mfma_f32_16x16x32_fp8_fp8 v[148:151], a[32:33], v[168:169], v[148:151]// 000000006264: D3F30094 0E535120
	buffer_load_dwordx4 a[88:91], v34, s[92:95], 0 offen offset:2048// 00000000626C: E05C1800 80975822
	v_mfma_f32_16x16x32_fp8_fp8 v[148:151], a[34:35], v[170:171], v[148:151]// 000000006274: D3F30094 0E535522
	v_mfma_f32_16x16x32_fp8_fp8 v[148:151], a[36:37], v[172:173], v[148:151]// 00000000627C: D3F30094 0E535924
	v_mfma_f32_16x16x32_fp8_fp8 v[148:151], a[38:39], v[174:175], v[148:151]// 000000006284: D3F30094 0E535D26
	v_mfma_f32_16x16x32_fp8_fp8 v[148:151], a[40:41], v[176:177], v[148:151]// 00000000628C: D3F30094 0E536128
	buffer_load_dwordx4 a[92:95], v34, s[92:95], 0 offen offset:3072// 000000006294: E05C1C00 80975C22
	v_mfma_f32_16x16x32_fp8_fp8 v[148:151], a[42:43], v[178:179], v[148:151]// 00000000629C: D3F30094 0E53652A
	v_mfma_f32_16x16x32_fp8_fp8 v[148:151], a[44:45], v[180:181], v[148:151]// 0000000062A4: D3F30094 0E53692C
	v_mfma_f32_16x16x32_fp8_fp8 v[148:151], a[46:47], v[182:183], v[148:151]// 0000000062AC: D3F30094 0E536D2E
	s_waitcnt vmcnt(4)                                         // 0000000062B4: BF8C0F74
	s_barrier                                                  // 0000000062B8: BF8A0000
	v_mfma_f32_16x16x32_fp8_fp8 v[64:67], a[48:49], v[152:153], v[64:67]// 0000000062BC: D3F30040 0D033130
	buffer_load_dwordx4 a[0:3], v32, s[24:27], 0 offen         // 0000000062C4: E05C1000 80860020
	v_mfma_f32_16x16x32_fp8_fp8 v[64:67], a[50:51], v[154:155], v[64:67]// 0000000062CC: D3F30040 0D033532
	v_mfma_f32_16x16x32_fp8_fp8 v[64:67], a[52:53], v[156:157], v[64:67]// 0000000062D4: D3F30040 0D033934
	v_mfma_f32_16x16x32_fp8_fp8 v[64:67], a[54:55], v[158:159], v[64:67]// 0000000062DC: D3F30040 0D033D36
	v_mfma_f32_16x16x32_fp8_fp8 v[64:67], a[56:57], v[160:161], v[64:67]// 0000000062E4: D3F30040 0D034138
	buffer_load_dwordx4 a[4:7], v32, s[24:27], 0 offen offset:1024// 0000000062EC: E05C1400 80860420
	v_mfma_f32_16x16x32_fp8_fp8 v[64:67], a[58:59], v[162:163], v[64:67]// 0000000062F4: D3F30040 0D03453A
	v_mfma_f32_16x16x32_fp8_fp8 v[64:67], a[60:61], v[164:165], v[64:67]// 0000000062FC: D3F30040 0D03493C
	v_mfma_f32_16x16x32_fp8_fp8 v[64:67], a[62:63], v[166:167], v[64:67]// 000000006304: D3F30040 0D034D3E
	v_mfma_f32_16x16x32_fp8_fp8 v[68:71], a[48:49], v[168:169], v[68:71]// 00000000630C: D3F30044 0D135130
	buffer_load_dwordx4 a[8:11], v32, s[24:27], 0 offen offset:2048// 000000006314: E05C1800 80860820
	v_mfma_f32_16x16x32_fp8_fp8 v[68:71], a[50:51], v[170:171], v[68:71]// 00000000631C: D3F30044 0D135532
	v_mfma_f32_16x16x32_fp8_fp8 v[68:71], a[52:53], v[172:173], v[68:71]// 000000006324: D3F30044 0D135934
	v_mfma_f32_16x16x32_fp8_fp8 v[68:71], a[54:55], v[174:175], v[68:71]// 00000000632C: D3F30044 0D135D36
	v_mfma_f32_16x16x32_fp8_fp8 v[68:71], a[56:57], v[176:177], v[68:71]// 000000006334: D3F30044 0D136138
	buffer_load_dwordx4 a[12:15], v32, s[24:27], 0 offen offset:3072// 00000000633C: E05C1C00 80860C20
	v_mfma_f32_16x16x32_fp8_fp8 v[68:71], a[58:59], v[178:179], v[68:71]// 000000006344: D3F30044 0D13653A
	v_mfma_f32_16x16x32_fp8_fp8 v[68:71], a[60:61], v[180:181], v[68:71]// 00000000634C: D3F30044 0D13693C
	v_mfma_f32_16x16x32_fp8_fp8 v[68:71], a[62:63], v[182:183], v[68:71]// 000000006354: D3F30044 0D136D3E
	v_mfma_f32_16x16x32_fp8_fp8 v[72:75], a[64:65], v[152:153], v[72:75]// 00000000635C: D3F30048 0D233140
	buffer_load_dwordx4 a[16:19], v33, s[24:27], 0 offen       // 000000006364: E05C1000 80861021
	v_mfma_f32_16x16x32_fp8_fp8 v[72:75], a[66:67], v[154:155], v[72:75]// 00000000636C: D3F30048 0D233542
	v_mfma_f32_16x16x32_fp8_fp8 v[72:75], a[68:69], v[156:157], v[72:75]// 000000006374: D3F30048 0D233944
	ds_read_b128 v[184:187], v2 offset:8320                    // 00000000637C: D9FE2080 B8000002
	v_mfma_f32_16x16x32_fp8_fp8 v[72:75], a[70:71], v[158:159], v[72:75]// 000000006384: D3F30048 0D233D46
	v_mfma_f32_16x16x32_fp8_fp8 v[72:75], a[72:73], v[160:161], v[72:75]// 00000000638C: D3F30048 0D234148
	buffer_load_dwordx4 a[20:23], v33, s[24:27], 0 offen offset:1024// 000000006394: E05C1400 80861421
	v_mfma_f32_16x16x32_fp8_fp8 v[72:75], a[74:75], v[162:163], v[72:75]// 00000000639C: D3F30048 0D23454A
	v_mfma_f32_16x16x32_fp8_fp8 v[72:75], a[76:77], v[164:165], v[72:75]// 0000000063A4: D3F30048 0D23494C
	ds_read_b128 v[188:191], v2 offset:8384                    // 0000000063AC: D9FE20C0 BC000002
	v_mfma_f32_16x16x32_fp8_fp8 v[72:75], a[78:79], v[166:167], v[72:75]// 0000000063B4: D3F30048 0D234D4E
	v_mfma_f32_16x16x32_fp8_fp8 v[76:79], a[64:65], v[168:169], v[76:79]// 0000000063BC: D3F3004C 0D335140
	buffer_load_dwordx4 a[24:27], v33, s[24:27], 0 offen offset:2048// 0000000063C4: E05C1800 80861821
	v_mfma_f32_16x16x32_fp8_fp8 v[76:79], a[66:67], v[170:171], v[76:79]// 0000000063CC: D3F3004C 0D335542
	v_mfma_f32_16x16x32_fp8_fp8 v[76:79], a[68:69], v[172:173], v[76:79]// 0000000063D4: D3F3004C 0D335944
	ds_read_b128 v[192:195], v2 offset:8448                    // 0000000063DC: D9FE2100 C0000002
	v_mfma_f32_16x16x32_fp8_fp8 v[76:79], a[70:71], v[174:175], v[76:79]// 0000000063E4: D3F3004C 0D335D46
	v_mfma_f32_16x16x32_fp8_fp8 v[76:79], a[72:73], v[176:177], v[76:79]// 0000000063EC: D3F3004C 0D336148
	buffer_load_dwordx4 a[28:31], v33, s[24:27], 0 offen offset:3072// 0000000063F4: E05C1C00 80861C21
	v_mfma_f32_16x16x32_fp8_fp8 v[76:79], a[74:75], v[178:179], v[76:79]// 0000000063FC: D3F3004C 0D33654A
	v_mfma_f32_16x16x32_fp8_fp8 v[76:79], a[76:77], v[180:181], v[76:79]// 000000006404: D3F3004C 0D33694C
	ds_read_b128 v[196:199], v2 offset:8512                    // 00000000640C: D9FE2140 C4000002
	v_mfma_f32_16x16x32_fp8_fp8 v[76:79], a[78:79], v[182:183], v[76:79]// 000000006414: D3F3004C 0D336D4E
	s_waitcnt vmcnt(8)                                         // 00000000641C: BF8C0F78
	v_mfma_f32_16x16x32_fp8_fp8 v[80:83], a[80:81], v[152:153], v[80:83]// 000000006420: D3F30050 0D433150
	buffer_load_dwordx4 a[32:35], v34, s[24:27], 0 offen       // 000000006428: E05C1000 80862022
	v_mfma_f32_16x16x32_fp8_fp8 v[80:83], a[82:83], v[154:155], v[80:83]// 000000006430: D3F30050 0D433552
	v_mfma_f32_16x16x32_fp8_fp8 v[80:83], a[84:85], v[156:157], v[80:83]// 000000006438: D3F30050 0D433954
	ds_read_b128 v[200:203], v2 offset:9344                    // 000000006440: D9FE2480 C8000002
	v_mfma_f32_16x16x32_fp8_fp8 v[80:83], a[86:87], v[158:159], v[80:83]// 000000006448: D3F30050 0D433D56
	v_mfma_f32_16x16x32_fp8_fp8 v[80:83], a[88:89], v[160:161], v[80:83]// 000000006450: D3F30050 0D434158
	buffer_load_dwordx4 a[36:39], v34, s[24:27], 0 offen offset:1024// 000000006458: E05C1400 80862422
	v_mfma_f32_16x16x32_fp8_fp8 v[80:83], a[90:91], v[162:163], v[80:83]// 000000006460: D3F30050 0D43455A
	v_mfma_f32_16x16x32_fp8_fp8 v[80:83], a[92:93], v[164:165], v[80:83]// 000000006468: D3F30050 0D43495C
	ds_read_b128 v[204:207], v2 offset:9408                    // 000000006470: D9FE24C0 CC000002
	v_mfma_f32_16x16x32_fp8_fp8 v[80:83], a[94:95], v[166:167], v[80:83]// 000000006478: D3F30050 0D434D5E
	v_mfma_f32_16x16x32_fp8_fp8 v[84:87], a[80:81], v[168:169], v[84:87]// 000000006480: D3F30054 0D535150
	buffer_load_dwordx4 a[40:43], v34, s[24:27], 0 offen offset:2048// 000000006488: E05C1800 80862822
	v_mfma_f32_16x16x32_fp8_fp8 v[84:87], a[82:83], v[170:171], v[84:87]// 000000006490: D3F30054 0D535552
	v_mfma_f32_16x16x32_fp8_fp8 v[84:87], a[84:85], v[172:173], v[84:87]// 000000006498: D3F30054 0D535954
	ds_read_b128 v[208:211], v2 offset:9472                    // 0000000064A0: D9FE2500 D0000002
	v_mfma_f32_16x16x32_fp8_fp8 v[84:87], a[86:87], v[174:175], v[84:87]// 0000000064A8: D3F30054 0D535D56
	v_mfma_f32_16x16x32_fp8_fp8 v[84:87], a[88:89], v[176:177], v[84:87]// 0000000064B0: D3F30054 0D536158
	buffer_load_dwordx4 a[44:47], v34, s[24:27], 0 offen offset:3072// 0000000064B8: E05C1C00 80862C22
	v_mfma_f32_16x16x32_fp8_fp8 v[84:87], a[90:91], v[178:179], v[84:87]// 0000000064C0: D3F30054 0D53655A
	v_mfma_f32_16x16x32_fp8_fp8 v[84:87], a[92:93], v[180:181], v[84:87]// 0000000064C8: D3F30054 0D53695C
	ds_read_b128 v[212:215], v2 offset:9536                    // 0000000064D0: D9FE2540 D4000002
	v_mfma_f32_16x16x32_fp8_fp8 v[84:87], a[94:95], v[182:183], v[84:87]// 0000000064D8: D3F30054 0D536D5E
	s_add_u32 s60, 0x200, s80                                  // 0000000064E0: 803C50FF 00000200
	s_cmp_lt_u32 s60, s81                                      // 0000000064E8: BF0A513C
	s_cselect_b32 s57, s57, 0                                  // 0000000064EC: 85398039
	s_add_u32 s60, 0x200, s80                                  // 0000000064F0: 803C50FF 00000200
	s_cmp_lt_u32 s60, s81                                      // 0000000064F8: BF0A513C
	s_cselect_b32 s58, s58, 0                                  // 0000000064FC: 853A803A
	s_add_u32 s20, s57, s20                                    // 000000006500: 80141439
	s_addc_u32 s21, 0, s21                                     // 000000006504: 82151580
	s_add_u32 s24, s58, s24                                    // 000000006508: 8018183A
	s_addc_u32 s25, 0, s25                                     // 00000000650C: 82191980
	s_add_u32 s92, s90, s92                                    // 000000006510: 805C5C5A
	s_addc_u32 s93, 0, s93                                     // 000000006514: 825D5D80
	s_addk_i32 s80, 0x100                                      // 000000006518: B7500100
	s_cmp_lt_i32 s80, s81                                      // 00000000651C: BF045150
	s_cbranch_scc0 label_0F00                                  // 000000006520: BF840137
	s_waitcnt vmcnt(4) lgkmcnt(0)                              // 000000006524: BF8C0074
	s_barrier                                                  // 000000006528: BF8A0000
	v_mfma_f32_16x16x32_fp8_fp8 v[128:131], a[0:1], v[184:185], v[128:131]// 00000000652C: D3F30080 0E037100
	buffer_load_dwordx4 a[48:51], v32, s[92:95], 0 offen       // 000000006534: E05C1000 80973020
	v_mfma_f32_16x16x32_fp8_fp8 v[128:131], a[2:3], v[186:187], v[128:131]// 00000000653C: D3F30080 0E037502
	v_mfma_f32_16x16x32_fp8_fp8 v[128:131], a[4:5], v[188:189], v[128:131]// 000000006544: D3F30080 0E037904
	buffer_load_dword v24, s[20:23], 0 offen lds               // 00000000654C: E0511000 80050018
	s_add_u32 m0, 0x100, s50                                   // 000000006554: 807C32FF 00000100
	v_mfma_f32_16x16x32_fp8_fp8 v[128:131], a[6:7], v[190:191], v[128:131]// 00000000655C: D3F30080 0E037D06
	v_mfma_f32_16x16x32_fp8_fp8 v[128:131], a[8:9], v[192:193], v[128:131]// 000000006564: D3F30080 0E038108
	buffer_load_dwordx4 a[52:55], v32, s[92:95], 0 offen offset:1024// 00000000656C: E05C1400 80973420
	v_mfma_f32_16x16x32_fp8_fp8 v[128:131], a[10:11], v[194:195], v[128:131]// 000000006574: D3F30080 0E03850A
	v_mfma_f32_16x16x32_fp8_fp8 v[128:131], a[12:13], v[196:197], v[128:131]// 00000000657C: D3F30080 0E03890C
	buffer_load_dword v25, s[20:23], 0 offen lds               // 000000006584: E0511000 80050019
	s_add_u32 m0, 0x200, s50                                   // 00000000658C: 807C32FF 00000200
	v_mfma_f32_16x16x32_fp8_fp8 v[128:131], a[14:15], v[198:199], v[128:131]// 000000006594: D3F30080 0E038D0E
	v_mfma_f32_16x16x32_fp8_fp8 v[132:135], a[0:1], v[200:201], v[132:135]// 00000000659C: D3F30084 0E139100
	buffer_load_dwordx4 a[56:59], v32, s[92:95], 0 offen offset:2048// 0000000065A4: E05C1800 80973820
	v_mfma_f32_16x16x32_fp8_fp8 v[132:135], a[2:3], v[202:203], v[132:135]// 0000000065AC: D3F30084 0E139502
	v_mfma_f32_16x16x32_fp8_fp8 v[132:135], a[4:5], v[204:205], v[132:135]// 0000000065B4: D3F30084 0E139904
	buffer_load_dword v26, s[20:23], 0 offen lds               // 0000000065BC: E0511000 8005001A
	s_add_u32 m0, 0x300, s50                                   // 0000000065C4: 807C32FF 00000300
	v_mfma_f32_16x16x32_fp8_fp8 v[132:135], a[6:7], v[206:207], v[132:135]// 0000000065CC: D3F30084 0E139D06
	v_mfma_f32_16x16x32_fp8_fp8 v[132:135], a[8:9], v[208:209], v[132:135]// 0000000065D4: D3F30084 0E13A108
	buffer_load_dwordx4 a[60:63], v32, s[92:95], 0 offen offset:3072// 0000000065DC: E05C1C00 80973C20
	v_mfma_f32_16x16x32_fp8_fp8 v[132:135], a[10:11], v[210:211], v[132:135]// 0000000065E4: D3F30084 0E13A50A
	v_mfma_f32_16x16x32_fp8_fp8 v[132:135], a[12:13], v[212:213], v[132:135]// 0000000065EC: D3F30084 0E13A90C
	buffer_load_dword v27, s[20:23], 0 offen lds               // 0000000065F4: E0511000 8005001B
	s_add_u32 m0, 0x400, s50                                   // 0000000065FC: 807C32FF 00000400
	v_mfma_f32_16x16x32_fp8_fp8 v[132:135], a[14:15], v[214:215], v[132:135]// 000000006604: D3F30084 0E13AD0E
	v_mfma_f32_16x16x32_fp8_fp8 v[136:139], a[16:17], v[184:185], v[136:139]// 00000000660C: D3F30088 0E237110
	buffer_load_dwordx4 a[64:67], v33, s[92:95], 0 offen       // 000000006614: E05C1000 80974021
	v_mfma_f32_16x16x32_fp8_fp8 v[136:139], a[18:19], v[186:187], v[136:139]// 00000000661C: D3F30088 0E237512
	v_mfma_f32_16x16x32_fp8_fp8 v[136:139], a[20:21], v[188:189], v[136:139]// 000000006624: D3F30088 0E237914
	buffer_load_dword v28, s[20:23], 0 offen lds               // 00000000662C: E0511000 8005001C
	s_add_u32 m0, 0x500, s50                                   // 000000006634: 807C32FF 00000500
	v_mfma_f32_16x16x32_fp8_fp8 v[136:139], a[22:23], v[190:191], v[136:139]// 00000000663C: D3F30088 0E237D16
	v_mfma_f32_16x16x32_fp8_fp8 v[136:139], a[24:25], v[192:193], v[136:139]// 000000006644: D3F30088 0E238118
	buffer_load_dwordx4 a[68:71], v33, s[92:95], 0 offen offset:1024// 00000000664C: E05C1400 80974421
	v_mfma_f32_16x16x32_fp8_fp8 v[136:139], a[26:27], v[194:195], v[136:139]// 000000006654: D3F30088 0E23851A
	v_mfma_f32_16x16x32_fp8_fp8 v[136:139], a[28:29], v[196:197], v[136:139]// 00000000665C: D3F30088 0E23891C
	buffer_load_dword v29, s[20:23], 0 offen lds               // 000000006664: E0511000 8005001D
	s_add_u32 m0, 0x600, s50                                   // 00000000666C: 807C32FF 00000600
	v_mfma_f32_16x16x32_fp8_fp8 v[136:139], a[30:31], v[198:199], v[136:139]// 000000006674: D3F30088 0E238D1E
	v_mfma_f32_16x16x32_fp8_fp8 v[140:143], a[16:17], v[200:201], v[140:143]// 00000000667C: D3F3008C 0E339110
	buffer_load_dwordx4 a[72:75], v33, s[92:95], 0 offen offset:2048// 000000006684: E05C1800 80974821
	v_mfma_f32_16x16x32_fp8_fp8 v[140:143], a[18:19], v[202:203], v[140:143]// 00000000668C: D3F3008C 0E339512
	v_mfma_f32_16x16x32_fp8_fp8 v[140:143], a[20:21], v[204:205], v[140:143]// 000000006694: D3F3008C 0E339914
	buffer_load_dword v30, s[20:23], 0 offen lds               // 00000000669C: E0511000 8005001E
	s_add_u32 m0, 0x700, s50                                   // 0000000066A4: 807C32FF 00000700
	v_mfma_f32_16x16x32_fp8_fp8 v[140:143], a[22:23], v[206:207], v[140:143]// 0000000066AC: D3F3008C 0E339D16
	v_mfma_f32_16x16x32_fp8_fp8 v[140:143], a[24:25], v[208:209], v[140:143]// 0000000066B4: D3F3008C 0E33A118
	buffer_load_dwordx4 a[76:79], v33, s[92:95], 0 offen offset:3072// 0000000066BC: E05C1C00 80974C21
	v_mfma_f32_16x16x32_fp8_fp8 v[140:143], a[26:27], v[210:211], v[140:143]// 0000000066C4: D3F3008C 0E33A51A
	v_mfma_f32_16x16x32_fp8_fp8 v[140:143], a[28:29], v[212:213], v[140:143]// 0000000066CC: D3F3008C 0E33A91C
	buffer_load_dword v31, s[20:23], 0 offen lds               // 0000000066D4: E0511000 8005001F
	s_add_u32 m0, 0, s51                                       // 0000000066DC: 807C3380
	v_mfma_f32_16x16x32_fp8_fp8 v[140:143], a[30:31], v[214:215], v[140:143]// 0000000066E0: D3F3008C 0E33AD1E
	s_waitcnt vmcnt(16)                                        // 0000000066E8: BF8C4F70
	v_mfma_f32_16x16x32_fp8_fp8 v[144:147], a[32:33], v[184:185], v[144:147]// 0000000066EC: D3F30090 0E437120
	buffer_load_dwordx4 a[80:83], v34, s[92:95], 0 offen       // 0000000066F4: E05C1000 80975022
	v_mfma_f32_16x16x32_fp8_fp8 v[144:147], a[34:35], v[186:187], v[144:147]// 0000000066FC: D3F30090 0E437522
	v_mfma_f32_16x16x32_fp8_fp8 v[144:147], a[36:37], v[188:189], v[144:147]// 000000006704: D3F30090 0E437924
	v_mfma_f32_16x16x32_fp8_fp8 v[144:147], a[38:39], v[190:191], v[144:147]// 00000000670C: D3F30090 0E437D26
	v_mfma_f32_16x16x32_fp8_fp8 v[144:147], a[40:41], v[192:193], v[144:147]// 000000006714: D3F30090 0E438128
	buffer_load_dwordx4 a[84:87], v34, s[92:95], 0 offen offset:1024// 00000000671C: E05C1400 80975422
	v_mfma_f32_16x16x32_fp8_fp8 v[144:147], a[42:43], v[194:195], v[144:147]// 000000006724: D3F30090 0E43852A
	v_mfma_f32_16x16x32_fp8_fp8 v[144:147], a[44:45], v[196:197], v[144:147]// 00000000672C: D3F30090 0E43892C
	v_mfma_f32_16x16x32_fp8_fp8 v[144:147], a[46:47], v[198:199], v[144:147]// 000000006734: D3F30090 0E438D2E
	v_mfma_f32_16x16x32_fp8_fp8 v[148:151], a[32:33], v[200:201], v[148:151]// 00000000673C: D3F30094 0E539120
	buffer_load_dwordx4 a[88:91], v34, s[92:95], 0 offen offset:2048// 000000006744: E05C1800 80975822
	v_mfma_f32_16x16x32_fp8_fp8 v[148:151], a[34:35], v[202:203], v[148:151]// 00000000674C: D3F30094 0E539522
	v_mfma_f32_16x16x32_fp8_fp8 v[148:151], a[36:37], v[204:205], v[148:151]// 000000006754: D3F30094 0E539924
	v_mfma_f32_16x16x32_fp8_fp8 v[148:151], a[38:39], v[206:207], v[148:151]// 00000000675C: D3F30094 0E539D26
	v_mfma_f32_16x16x32_fp8_fp8 v[148:151], a[40:41], v[208:209], v[148:151]// 000000006764: D3F30094 0E53A128
	buffer_load_dwordx4 a[92:95], v34, s[92:95], 0 offen offset:3072// 00000000676C: E05C1C00 80975C22
	v_mfma_f32_16x16x32_fp8_fp8 v[148:151], a[42:43], v[210:211], v[148:151]// 000000006774: D3F30094 0E53A52A
	v_mfma_f32_16x16x32_fp8_fp8 v[148:151], a[44:45], v[212:213], v[148:151]// 00000000677C: D3F30094 0E53A92C
	v_mfma_f32_16x16x32_fp8_fp8 v[148:151], a[46:47], v[214:215], v[148:151]// 000000006784: D3F30094 0E53AD2E
	s_waitcnt vmcnt(4)                                         // 00000000678C: BF8C0F74
	s_barrier                                                  // 000000006790: BF8A0000
	v_mfma_f32_16x16x32_fp8_fp8 v[64:67], a[48:49], v[184:185], v[64:67]// 000000006794: D3F30040 0D037130
	buffer_load_dwordx4 a[0:3], v32, s[24:27], 0 offen         // 00000000679C: E05C1000 80860020
	v_mfma_f32_16x16x32_fp8_fp8 v[64:67], a[50:51], v[186:187], v[64:67]// 0000000067A4: D3F30040 0D037532
	v_mfma_f32_16x16x32_fp8_fp8 v[64:67], a[52:53], v[188:189], v[64:67]// 0000000067AC: D3F30040 0D037934
	v_mfma_f32_16x16x32_fp8_fp8 v[64:67], a[54:55], v[190:191], v[64:67]// 0000000067B4: D3F30040 0D037D36
	v_mfma_f32_16x16x32_fp8_fp8 v[64:67], a[56:57], v[192:193], v[64:67]// 0000000067BC: D3F30040 0D038138
	buffer_load_dwordx4 a[4:7], v32, s[24:27], 0 offen offset:1024// 0000000067C4: E05C1400 80860420
	v_mfma_f32_16x16x32_fp8_fp8 v[64:67], a[58:59], v[194:195], v[64:67]// 0000000067CC: D3F30040 0D03853A
	v_mfma_f32_16x16x32_fp8_fp8 v[64:67], a[60:61], v[196:197], v[64:67]// 0000000067D4: D3F30040 0D03893C
	v_mfma_f32_16x16x32_fp8_fp8 v[64:67], a[62:63], v[198:199], v[64:67]// 0000000067DC: D3F30040 0D038D3E
	v_mfma_f32_16x16x32_fp8_fp8 v[68:71], a[48:49], v[200:201], v[68:71]// 0000000067E4: D3F30044 0D139130
	buffer_load_dwordx4 a[8:11], v32, s[24:27], 0 offen offset:2048// 0000000067EC: E05C1800 80860820
	v_mfma_f32_16x16x32_fp8_fp8 v[68:71], a[50:51], v[202:203], v[68:71]// 0000000067F4: D3F30044 0D139532
	v_mfma_f32_16x16x32_fp8_fp8 v[68:71], a[52:53], v[204:205], v[68:71]// 0000000067FC: D3F30044 0D139934
	v_mfma_f32_16x16x32_fp8_fp8 v[68:71], a[54:55], v[206:207], v[68:71]// 000000006804: D3F30044 0D139D36
	v_mfma_f32_16x16x32_fp8_fp8 v[68:71], a[56:57], v[208:209], v[68:71]// 00000000680C: D3F30044 0D13A138
	buffer_load_dwordx4 a[12:15], v32, s[24:27], 0 offen offset:3072// 000000006814: E05C1C00 80860C20
	v_mfma_f32_16x16x32_fp8_fp8 v[68:71], a[58:59], v[210:211], v[68:71]// 00000000681C: D3F30044 0D13A53A
	v_mfma_f32_16x16x32_fp8_fp8 v[68:71], a[60:61], v[212:213], v[68:71]// 000000006824: D3F30044 0D13A93C
	v_mfma_f32_16x16x32_fp8_fp8 v[68:71], a[62:63], v[214:215], v[68:71]// 00000000682C: D3F30044 0D13AD3E
	v_mfma_f32_16x16x32_fp8_fp8 v[72:75], a[64:65], v[184:185], v[72:75]// 000000006834: D3F30048 0D237140
	buffer_load_dwordx4 a[16:19], v33, s[24:27], 0 offen       // 00000000683C: E05C1000 80861021
	v_mfma_f32_16x16x32_fp8_fp8 v[72:75], a[66:67], v[186:187], v[72:75]// 000000006844: D3F30048 0D237542
	v_mfma_f32_16x16x32_fp8_fp8 v[72:75], a[68:69], v[188:189], v[72:75]// 00000000684C: D3F30048 0D237944
	ds_read_b128 v[152:155], v2                                // 000000006854: D9FE0000 98000002
	v_mfma_f32_16x16x32_fp8_fp8 v[72:75], a[70:71], v[190:191], v[72:75]// 00000000685C: D3F30048 0D237D46
	v_mfma_f32_16x16x32_fp8_fp8 v[72:75], a[72:73], v[192:193], v[72:75]// 000000006864: D3F30048 0D238148
	buffer_load_dwordx4 a[20:23], v33, s[24:27], 0 offen offset:1024// 00000000686C: E05C1400 80861421
	v_mfma_f32_16x16x32_fp8_fp8 v[72:75], a[74:75], v[194:195], v[72:75]// 000000006874: D3F30048 0D23854A
	v_mfma_f32_16x16x32_fp8_fp8 v[72:75], a[76:77], v[196:197], v[72:75]// 00000000687C: D3F30048 0D23894C
	ds_read_b128 v[156:159], v2 offset:64                      // 000000006884: D9FE0040 9C000002
	v_mfma_f32_16x16x32_fp8_fp8 v[72:75], a[78:79], v[198:199], v[72:75]// 00000000688C: D3F30048 0D238D4E
	v_mfma_f32_16x16x32_fp8_fp8 v[76:79], a[64:65], v[200:201], v[76:79]// 000000006894: D3F3004C 0D339140
	buffer_load_dwordx4 a[24:27], v33, s[24:27], 0 offen offset:2048// 00000000689C: E05C1800 80861821
	v_mfma_f32_16x16x32_fp8_fp8 v[76:79], a[66:67], v[202:203], v[76:79]// 0000000068A4: D3F3004C 0D339542
	v_mfma_f32_16x16x32_fp8_fp8 v[76:79], a[68:69], v[204:205], v[76:79]// 0000000068AC: D3F3004C 0D339944
	ds_read_b128 v[160:163], v2 offset:128                     // 0000000068B4: D9FE0080 A0000002
	v_mfma_f32_16x16x32_fp8_fp8 v[76:79], a[70:71], v[206:207], v[76:79]// 0000000068BC: D3F3004C 0D339D46
	v_mfma_f32_16x16x32_fp8_fp8 v[76:79], a[72:73], v[208:209], v[76:79]// 0000000068C4: D3F3004C 0D33A148
	buffer_load_dwordx4 a[28:31], v33, s[24:27], 0 offen offset:3072// 0000000068CC: E05C1C00 80861C21
	v_mfma_f32_16x16x32_fp8_fp8 v[76:79], a[74:75], v[210:211], v[76:79]// 0000000068D4: D3F3004C 0D33A54A
	v_mfma_f32_16x16x32_fp8_fp8 v[76:79], a[76:77], v[212:213], v[76:79]// 0000000068DC: D3F3004C 0D33A94C
	ds_read_b128 v[164:167], v2 offset:192                     // 0000000068E4: D9FE00C0 A4000002
	v_mfma_f32_16x16x32_fp8_fp8 v[76:79], a[78:79], v[214:215], v[76:79]// 0000000068EC: D3F3004C 0D33AD4E
	s_waitcnt vmcnt(8)                                         // 0000000068F4: BF8C0F78
	v_mfma_f32_16x16x32_fp8_fp8 v[80:83], a[80:81], v[184:185], v[80:83]// 0000000068F8: D3F30050 0D437150
	buffer_load_dwordx4 a[32:35], v34, s[24:27], 0 offen       // 000000006900: E05C1000 80862022
	v_mfma_f32_16x16x32_fp8_fp8 v[80:83], a[82:83], v[186:187], v[80:83]// 000000006908: D3F30050 0D437552
	v_mfma_f32_16x16x32_fp8_fp8 v[80:83], a[84:85], v[188:189], v[80:83]// 000000006910: D3F30050 0D437954
	ds_read_b128 v[168:171], v2 offset:1024                    // 000000006918: D9FE0400 A8000002
	v_mfma_f32_16x16x32_fp8_fp8 v[80:83], a[86:87], v[190:191], v[80:83]// 000000006920: D3F30050 0D437D56
	v_mfma_f32_16x16x32_fp8_fp8 v[80:83], a[88:89], v[192:193], v[80:83]// 000000006928: D3F30050 0D438158
	buffer_load_dwordx4 a[36:39], v34, s[24:27], 0 offen offset:1024// 000000006930: E05C1400 80862422
	v_mfma_f32_16x16x32_fp8_fp8 v[80:83], a[90:91], v[194:195], v[80:83]// 000000006938: D3F30050 0D43855A
	v_mfma_f32_16x16x32_fp8_fp8 v[80:83], a[92:93], v[196:197], v[80:83]// 000000006940: D3F30050 0D43895C
	ds_read_b128 v[172:175], v2 offset:1088                    // 000000006948: D9FE0440 AC000002
	v_mfma_f32_16x16x32_fp8_fp8 v[80:83], a[94:95], v[198:199], v[80:83]// 000000006950: D3F30050 0D438D5E
	v_mfma_f32_16x16x32_fp8_fp8 v[84:87], a[80:81], v[200:201], v[84:87]// 000000006958: D3F30054 0D539150
	buffer_load_dwordx4 a[40:43], v34, s[24:27], 0 offen offset:2048// 000000006960: E05C1800 80862822
	v_mfma_f32_16x16x32_fp8_fp8 v[84:87], a[82:83], v[202:203], v[84:87]// 000000006968: D3F30054 0D539552
	v_mfma_f32_16x16x32_fp8_fp8 v[84:87], a[84:85], v[204:205], v[84:87]// 000000006970: D3F30054 0D539954
	ds_read_b128 v[176:179], v2 offset:1152                    // 000000006978: D9FE0480 B0000002
	v_mfma_f32_16x16x32_fp8_fp8 v[84:87], a[86:87], v[206:207], v[84:87]// 000000006980: D3F30054 0D539D56
	v_mfma_f32_16x16x32_fp8_fp8 v[84:87], a[88:89], v[208:209], v[84:87]// 000000006988: D3F30054 0D53A158
	buffer_load_dwordx4 a[44:47], v34, s[24:27], 0 offen offset:3072// 000000006990: E05C1C00 80862C22
	v_mfma_f32_16x16x32_fp8_fp8 v[84:87], a[90:91], v[210:211], v[84:87]// 000000006998: D3F30054 0D53A55A
	v_mfma_f32_16x16x32_fp8_fp8 v[84:87], a[92:93], v[212:213], v[84:87]// 0000000069A0: D3F30054 0D53A95C
	ds_read_b128 v[180:183], v2 offset:1216                    // 0000000069A8: D9FE04C0 B4000002
	v_mfma_f32_16x16x32_fp8_fp8 v[84:87], a[94:95], v[214:215], v[84:87]// 0000000069B0: D3F30054 0D53AD5E
	s_add_u32 s60, 0x200, s80                                  // 0000000069B8: 803C50FF 00000200
	s_cmp_lt_u32 s60, s81                                      // 0000000069C0: BF0A513C
	s_cselect_b32 s57, s57, 0                                  // 0000000069C4: 85398039
	s_add_u32 s60, 0x200, s80                                  // 0000000069C8: 803C50FF 00000200
	s_cmp_lt_u32 s60, s81                                      // 0000000069D0: BF0A513C
	s_cselect_b32 s58, s58, 0                                  // 0000000069D4: 853A803A
	s_add_u32 s20, s57, s20                                    // 0000000069D8: 80141439
	s_addc_u32 s21, 0, s21                                     // 0000000069DC: 82151580
	s_add_u32 s24, s58, s24                                    // 0000000069E0: 8018183A
	s_addc_u32 s25, 0, s25                                     // 0000000069E4: 82191980
	s_add_u32 s92, s90, s92                                    // 0000000069E8: 805C5C5A
	s_addc_u32 s93, 0, s93                                     // 0000000069EC: 825D5D80
	s_addk_i32 s80, 0x100                                      // 0000000069F0: B7500100
	s_cmp_lt_i32 s80, s81                                      // 0000000069F4: BF045150
	s_cbranch_scc0 label_0F00                                  // 0000000069F8: BF840001
	s_branch label_0C93                                        // 0000000069FC: BF82FD93

0000000000006a00 <label_0F00>:
	s_mov_b32 s36, -1                                          // 000000006A00: BEA400C1
	s_mov_b32 s37, -1                                          // 000000006A04: BEA500C1
	s_mov_b64 s[60:61], 0                                      // 000000006A08: BEBC0180
	s_cmp_lt_u32 s82, s66                                      // 000000006A0C: BF0A4252
	s_cselect_b64 s[20:21], s[36:37], s[60:61]                 // 000000006A10: 85943C24
	s_cmp_lt_u32 s83, s66                                      // 000000006A14: BF0A4253
	s_cselect_b64 s[22:23], s[36:37], s[60:61]                 // 000000006A18: 85963C24
	s_cmp_lt_u32 s84, s66                                      // 000000006A1C: BF0A4254
	s_cselect_b64 s[24:25], s[36:37], s[60:61]                 // 000000006A20: 85983C24
	s_cmp_lt_u32 s85, s66                                      // 000000006A24: BF0A4255
	s_cselect_b64 s[26:27], s[36:37], s[60:61]                 // 000000006A28: 859A3C24
	s_cmp_lt_u32 s86, s66                                      // 000000006A2C: BF0A4256
	s_cselect_b64 s[28:29], s[36:37], s[60:61]                 // 000000006A30: 859C3C24
	s_cmp_lt_u32 s87, s66                                      // 000000006A34: BF0A4257
	s_cselect_b64 s[30:31], s[36:37], s[60:61]                 // 000000006A38: 859E3C24
	s_cmp_lt_u32 s88, s66                                      // 000000006A3C: BF0A4258
	s_cselect_b64 s[32:33], s[36:37], s[60:61]                 // 000000006A40: 85A03C24
	s_cmp_lt_u32 s89, s66                                      // 000000006A44: BF0A4259
	s_cselect_b64 s[34:35], s[36:37], s[60:61]                 // 000000006A48: 85A23C24
	v_mul_f32_e32 v128, v13, v128                              // 000000006A4C: 0B01010D
	v_mul_f32_e32 v129, v13, v129                              // 000000006A50: 0B03030D
	v_mul_f32_e32 v130, v13, v130                              // 000000006A54: 0B05050D
	v_mul_f32_e32 v131, v13, v131                              // 000000006A58: 0B07070D
	v_mul_f32_dpp v128, v15, v128 row_newbcast:0 row_mask:0xf bank_mask:0xf// 000000006A5C: 0B0100FA FF01500F
	v_mul_f32_dpp v129, v15, v129 row_newbcast:1 row_mask:0xf bank_mask:0xf// 000000006A64: 0B0302FA FF01510F
	v_mul_f32_dpp v130, v15, v130 row_newbcast:2 row_mask:0xf bank_mask:0xf// 000000006A6C: 0B0504FA FF01520F
	v_mul_f32_dpp v131, v15, v131 row_newbcast:3 row_mask:0xf bank_mask:0xf// 000000006A74: 0B0706FA FF01530F
	v_mul_f32_e32 v132, v14, v132                              // 000000006A7C: 0B09090E
	v_mul_f32_e32 v133, v14, v133                              // 000000006A80: 0B0B0B0E
	v_mul_f32_e32 v134, v14, v134                              // 000000006A84: 0B0D0D0E
	v_mul_f32_e32 v135, v14, v135                              // 000000006A88: 0B0F0F0E
	v_mul_f32_dpp v132, v15, v132 row_newbcast:0 row_mask:0xf bank_mask:0xf// 000000006A8C: 0B0908FA FF01500F
	v_mul_f32_dpp v133, v15, v133 row_newbcast:1 row_mask:0xf bank_mask:0xf// 000000006A94: 0B0B0AFA FF01510F
	v_mul_f32_dpp v134, v15, v134 row_newbcast:2 row_mask:0xf bank_mask:0xf// 000000006A9C: 0B0D0CFA FF01520F
	v_mul_f32_dpp v135, v15, v135 row_newbcast:3 row_mask:0xf bank_mask:0xf// 000000006AA4: 0B0F0EFA FF01530F
	v_mul_f32_e32 v136, v13, v136                              // 000000006AAC: 0B11110D
	v_mul_f32_e32 v137, v13, v137                              // 000000006AB0: 0B13130D
	v_mul_f32_e32 v138, v13, v138                              // 000000006AB4: 0B15150D
	v_mul_f32_e32 v139, v13, v139                              // 000000006AB8: 0B17170D
	v_mul_f32_dpp v136, v15, v136 row_newbcast:4 row_mask:0xf bank_mask:0xf// 000000006ABC: 0B1110FA FF01540F
	v_mul_f32_dpp v137, v15, v137 row_newbcast:5 row_mask:0xf bank_mask:0xf// 000000006AC4: 0B1312FA FF01550F
	v_mul_f32_dpp v138, v15, v138 row_newbcast:6 row_mask:0xf bank_mask:0xf// 000000006ACC: 0B1514FA FF01560F
	v_mul_f32_dpp v139, v15, v139 row_newbcast:7 row_mask:0xf bank_mask:0xf// 000000006AD4: 0B1716FA FF01570F
	v_mul_f32_e32 v140, v14, v140                              // 000000006ADC: 0B19190E
	v_mul_f32_e32 v141, v14, v141                              // 000000006AE0: 0B1B1B0E
	v_mul_f32_e32 v142, v14, v142                              // 000000006AE4: 0B1D1D0E
	v_mul_f32_e32 v143, v14, v143                              // 000000006AE8: 0B1F1F0E
	v_mul_f32_dpp v140, v15, v140 row_newbcast:4 row_mask:0xf bank_mask:0xf// 000000006AEC: 0B1918FA FF01540F
	v_mul_f32_dpp v141, v15, v141 row_newbcast:5 row_mask:0xf bank_mask:0xf// 000000006AF4: 0B1B1AFA FF01550F
	v_mul_f32_dpp v142, v15, v142 row_newbcast:6 row_mask:0xf bank_mask:0xf// 000000006AFC: 0B1D1CFA FF01560F
	v_mul_f32_dpp v143, v15, v143 row_newbcast:7 row_mask:0xf bank_mask:0xf// 000000006B04: 0B1F1EFA FF01570F
	v_mul_f32_e32 v144, v13, v144                              // 000000006B0C: 0B21210D
	v_mul_f32_e32 v145, v13, v145                              // 000000006B10: 0B23230D
	v_mul_f32_e32 v146, v13, v146                              // 000000006B14: 0B25250D
	v_mul_f32_e32 v147, v13, v147                              // 000000006B18: 0B27270D
	v_mul_f32_dpp v144, v15, v144 row_newbcast:8 row_mask:0xf bank_mask:0xf// 000000006B1C: 0B2120FA FF01580F
	v_mul_f32_dpp v145, v15, v145 row_newbcast:9 row_mask:0xf bank_mask:0xf// 000000006B24: 0B2322FA FF01590F
	v_mul_f32_dpp v146, v15, v146 row_newbcast:10 row_mask:0xf bank_mask:0xf// 000000006B2C: 0B2524FA FF015A0F
	v_mul_f32_dpp v147, v15, v147 row_newbcast:11 row_mask:0xf bank_mask:0xf// 000000006B34: 0B2726FA FF015B0F
	v_mul_f32_e32 v148, v14, v148                              // 000000006B3C: 0B29290E
	v_mul_f32_e32 v149, v14, v149                              // 000000006B40: 0B2B2B0E
	v_mul_f32_e32 v150, v14, v150                              // 000000006B44: 0B2D2D0E
	v_mul_f32_e32 v151, v14, v151                              // 000000006B48: 0B2F2F0E
	v_mul_f32_dpp v148, v15, v148 row_newbcast:8 row_mask:0xf bank_mask:0xf// 000000006B4C: 0B2928FA FF01580F
	v_mul_f32_dpp v149, v15, v149 row_newbcast:9 row_mask:0xf bank_mask:0xf// 000000006B54: 0B2B2AFA FF01590F
	v_mul_f32_dpp v150, v15, v150 row_newbcast:10 row_mask:0xf bank_mask:0xf// 000000006B5C: 0B2D2CFA FF015A0F
	v_mul_f32_dpp v151, v15, v151 row_newbcast:11 row_mask:0xf bank_mask:0xf// 000000006B64: 0B2F2EFA FF015B0F
	v_mul_f32_e32 v64, v13, v64                                // 000000006B6C: 0A80810D
	v_mul_f32_e32 v65, v13, v65                                // 000000006B70: 0A82830D
	v_mul_f32_e32 v66, v13, v66                                // 000000006B74: 0A84850D
	v_mul_f32_e32 v67, v13, v67                                // 000000006B78: 0A86870D
	v_mul_f32_dpp v64, v43, v64 row_newbcast:0 row_mask:0xf bank_mask:0xf// 000000006B7C: 0A8080FA FF01502B
	v_mul_f32_dpp v65, v43, v65 row_newbcast:1 row_mask:0xf bank_mask:0xf// 000000006B84: 0A8282FA FF01512B
	v_mul_f32_dpp v66, v43, v66 row_newbcast:2 row_mask:0xf bank_mask:0xf// 000000006B8C: 0A8484FA FF01522B
	v_mul_f32_dpp v67, v43, v67 row_newbcast:3 row_mask:0xf bank_mask:0xf// 000000006B94: 0A8686FA FF01532B
	v_mul_f32_e32 v68, v14, v68                                // 000000006B9C: 0A88890E
	v_mul_f32_e32 v69, v14, v69                                // 000000006BA0: 0A8A8B0E
	v_mul_f32_e32 v70, v14, v70                                // 000000006BA4: 0A8C8D0E
	v_mul_f32_e32 v71, v14, v71                                // 000000006BA8: 0A8E8F0E
	v_mul_f32_dpp v68, v43, v68 row_newbcast:0 row_mask:0xf bank_mask:0xf// 000000006BAC: 0A8888FA FF01502B
	v_mul_f32_dpp v69, v43, v69 row_newbcast:1 row_mask:0xf bank_mask:0xf// 000000006BB4: 0A8A8AFA FF01512B
	v_mul_f32_dpp v70, v43, v70 row_newbcast:2 row_mask:0xf bank_mask:0xf// 000000006BBC: 0A8C8CFA FF01522B
	v_mul_f32_dpp v71, v43, v71 row_newbcast:3 row_mask:0xf bank_mask:0xf// 000000006BC4: 0A8E8EFA FF01532B
	v_mul_f32_e32 v72, v13, v72                                // 000000006BCC: 0A90910D
	v_mul_f32_e32 v73, v13, v73                                // 000000006BD0: 0A92930D
	v_mul_f32_e32 v74, v13, v74                                // 000000006BD4: 0A94950D
	v_mul_f32_e32 v75, v13, v75                                // 000000006BD8: 0A96970D
	v_mul_f32_dpp v72, v43, v72 row_newbcast:4 row_mask:0xf bank_mask:0xf// 000000006BDC: 0A9090FA FF01542B
	v_mul_f32_dpp v73, v43, v73 row_newbcast:5 row_mask:0xf bank_mask:0xf// 000000006BE4: 0A9292FA FF01552B
	v_mul_f32_dpp v74, v43, v74 row_newbcast:6 row_mask:0xf bank_mask:0xf// 000000006BEC: 0A9494FA FF01562B
	v_mul_f32_dpp v75, v43, v75 row_newbcast:7 row_mask:0xf bank_mask:0xf// 000000006BF4: 0A9696FA FF01572B
	v_mul_f32_e32 v76, v14, v76                                // 000000006BFC: 0A98990E
	v_mul_f32_e32 v77, v14, v77                                // 000000006C00: 0A9A9B0E
	v_mul_f32_e32 v78, v14, v78                                // 000000006C04: 0A9C9D0E
	v_mul_f32_e32 v79, v14, v79                                // 000000006C08: 0A9E9F0E
	v_mul_f32_dpp v76, v43, v76 row_newbcast:4 row_mask:0xf bank_mask:0xf// 000000006C0C: 0A9898FA FF01542B
	v_mul_f32_dpp v77, v43, v77 row_newbcast:5 row_mask:0xf bank_mask:0xf// 000000006C14: 0A9A9AFA FF01552B
	v_mul_f32_dpp v78, v43, v78 row_newbcast:6 row_mask:0xf bank_mask:0xf// 000000006C1C: 0A9C9CFA FF01562B
	v_mul_f32_dpp v79, v43, v79 row_newbcast:7 row_mask:0xf bank_mask:0xf// 000000006C24: 0A9E9EFA FF01572B
	v_mul_f32_e32 v80, v13, v80                                // 000000006C2C: 0AA0A10D
	v_mul_f32_e32 v81, v13, v81                                // 000000006C30: 0AA2A30D
	v_mul_f32_e32 v82, v13, v82                                // 000000006C34: 0AA4A50D
	v_mul_f32_e32 v83, v13, v83                                // 000000006C38: 0AA6A70D
	v_mul_f32_dpp v80, v43, v80 row_newbcast:8 row_mask:0xf bank_mask:0xf// 000000006C3C: 0AA0A0FA FF01582B
	v_mul_f32_dpp v81, v43, v81 row_newbcast:9 row_mask:0xf bank_mask:0xf// 000000006C44: 0AA2A2FA FF01592B
	v_mul_f32_dpp v82, v43, v82 row_newbcast:10 row_mask:0xf bank_mask:0xf// 000000006C4C: 0AA4A4FA FF015A2B
	v_mul_f32_dpp v83, v43, v83 row_newbcast:11 row_mask:0xf bank_mask:0xf// 000000006C54: 0AA6A6FA FF015B2B
	v_mul_f32_e32 v84, v14, v84                                // 000000006C5C: 0AA8A90E
	v_mul_f32_e32 v85, v14, v85                                // 000000006C60: 0AAAAB0E
	v_mul_f32_e32 v86, v14, v86                                // 000000006C64: 0AACAD0E
	v_mul_f32_e32 v87, v14, v87                                // 000000006C68: 0AAEAF0E
	v_mul_f32_dpp v84, v43, v84 row_newbcast:8 row_mask:0xf bank_mask:0xf// 000000006C6C: 0AA8A8FA FF01582B
	v_mul_f32_dpp v85, v43, v85 row_newbcast:9 row_mask:0xf bank_mask:0xf// 000000006C74: 0AAAAAFA FF01592B
	v_mul_f32_dpp v86, v43, v86 row_newbcast:10 row_mask:0xf bank_mask:0xf// 000000006C7C: 0AACACFA FF015A2B
	v_mul_f32_dpp v87, v43, v87 row_newbcast:11 row_mask:0xf bank_mask:0xf// 000000006C84: 0AAEAEFA FF015B2B
	s_waitcnt vmcnt(8)                                         // 000000006C8C: BF8C0F78
	buffer_load_dwordx4 a[0:3], v35, s[12:15], 0 offen         // 000000006C90: E05C1000 80830023
	v_mul_f32_e64 v44, -v128, s6                               // 000000006C98: D105002C 20000D80
	v_mul_f32_e64 v45, -v129, s6                               // 000000006CA0: D105002D 20000D81
	v_mul_f32_e64 v46, -v130, s6                               // 000000006CA8: D105002E 20000D82
	v_mul_f32_e64 v47, -v131, s6                               // 000000006CB0: D105002F 20000D83
	v_exp_f32_e32 v44, v44                                     // 000000006CB8: 7E58412C
	v_exp_f32_e32 v45, v45                                     // 000000006CBC: 7E5A412D
	v_exp_f32_e32 v46, v46                                     // 000000006CC0: 7E5C412E
	v_exp_f32_e32 v47, v47                                     // 000000006CC4: 7E5E412F
	buffer_load_dwordx4 a[4:7], v36, s[12:15], 0 offen         // 000000006CC8: E05C1000 80830424
	v_add_f32_e64 v44, v44, 1.0                                // 000000006CD0: D101002C 0001E52C
	v_add_f32_e64 v45, v45, 1.0                                // 000000006CD8: D101002D 0001E52D
	v_add_f32_e64 v46, v46, 1.0                                // 000000006CE0: D101002E 0001E52E
	v_add_f32_e64 v47, v47, 1.0                                // 000000006CE8: D101002F 0001E52F
	v_rcp_f32_e32 v44, v44                                     // 000000006CF0: 7E58452C
	v_rcp_f32_e32 v45, v45                                     // 000000006CF4: 7E5A452D
	v_rcp_f32_e32 v46, v46                                     // 000000006CF8: 7E5C452E
	v_rcp_f32_e32 v47, v47                                     // 000000006CFC: 7E5E452F
	v_mul_f32_e32 v128, v128, v44                              // 000000006D00: 0B005980
	v_mul_f32_e32 v129, v129, v45                              // 000000006D04: 0B025B81
	v_mul_f32_e32 v130, v130, v46                              // 000000006D08: 0B045D82
	v_mul_f32_e32 v131, v131, v47                              // 000000006D0C: 0B065F83
	v_mul_f32_e32 v128, v128, v64                              // 000000006D10: 0B008180
	v_mul_f32_e32 v129, v129, v65                              // 000000006D14: 0B028381
	v_mul_f32_e32 v130, v130, v66                              // 000000006D18: 0B048582
	v_mul_f32_e32 v131, v131, v67                              // 000000006D1C: 0B068783
	buffer_load_dwordx4 a[8:11], v37, s[12:15], 0 offen        // 000000006D20: E05C1000 80830825
	v_mul_f32_e64 v44, -v132, s6                               // 000000006D28: D105002C 20000D84
	v_mul_f32_e64 v45, -v133, s6                               // 000000006D30: D105002D 20000D85
	v_mul_f32_e64 v46, -v134, s6                               // 000000006D38: D105002E 20000D86
	v_mul_f32_e64 v47, -v135, s6                               // 000000006D40: D105002F 20000D87
	v_exp_f32_e32 v44, v44                                     // 000000006D48: 7E58412C
	v_exp_f32_e32 v45, v45                                     // 000000006D4C: 7E5A412D
	v_exp_f32_e32 v46, v46                                     // 000000006D50: 7E5C412E
	v_exp_f32_e32 v47, v47                                     // 000000006D54: 7E5E412F
	buffer_load_dwordx4 a[12:15], v38, s[12:15], 0 offen       // 000000006D58: E05C1000 80830C26
	s_add_u32 s12, s78, s12                                    // 000000006D60: 800C0C4E
	s_addc_u32 s13, 0, s13                                     // 000000006D64: 820D0D80
	v_add_f32_e64 v44, v44, 1.0                                // 000000006D68: D101002C 0001E52C
	v_add_f32_e64 v45, v45, 1.0                                // 000000006D70: D101002D 0001E52D
	v_add_f32_e64 v46, v46, 1.0                                // 000000006D78: D101002E 0001E52E
	v_add_f32_e64 v47, v47, 1.0                                // 000000006D80: D101002F 0001E52F
	v_rcp_f32_e32 v44, v44                                     // 000000006D88: 7E58452C
	v_rcp_f32_e32 v45, v45                                     // 000000006D8C: 7E5A452D
	v_rcp_f32_e32 v46, v46                                     // 000000006D90: 7E5C452E
	v_rcp_f32_e32 v47, v47                                     // 000000006D94: 7E5E452F
	v_mul_f32_e32 v132, v132, v44                              // 000000006D98: 0B085984
	v_mul_f32_e32 v133, v133, v45                              // 000000006D9C: 0B0A5B85
	v_mul_f32_e32 v134, v134, v46                              // 000000006DA0: 0B0C5D86
	v_mul_f32_e32 v135, v135, v47                              // 000000006DA4: 0B0E5F87
	v_mul_f32_e32 v132, v132, v68                              // 000000006DA8: 0B088984
	v_mul_f32_e32 v133, v133, v69                              // 000000006DAC: 0B0A8B85
	v_mul_f32_e32 v134, v134, v70                              // 000000006DB0: 0B0C8D86
	v_mul_f32_e32 v135, v135, v71                              // 000000006DB4: 0B0E8F87
	s_waitcnt vmcnt(8)                                         // 000000006DB8: BF8C0F78
	buffer_load_dwordx4 a[16:19], v35, s[12:15], 0 offen       // 000000006DBC: E05C1000 80831023
	v_mul_f32_e64 v44, -v136, s6                               // 000000006DC4: D105002C 20000D88
	v_mul_f32_e64 v45, -v137, s6                               // 000000006DCC: D105002D 20000D89
	v_mul_f32_e64 v46, -v138, s6                               // 000000006DD4: D105002E 20000D8A
	v_mul_f32_e64 v47, -v139, s6                               // 000000006DDC: D105002F 20000D8B
	v_exp_f32_e32 v44, v44                                     // 000000006DE4: 7E58412C
	v_exp_f32_e32 v45, v45                                     // 000000006DE8: 7E5A412D
	v_exp_f32_e32 v46, v46                                     // 000000006DEC: 7E5C412E
	v_exp_f32_e32 v47, v47                                     // 000000006DF0: 7E5E412F
	buffer_load_dwordx4 a[20:23], v36, s[12:15], 0 offen       // 000000006DF4: E05C1000 80831424
	v_add_f32_e64 v44, v44, 1.0                                // 000000006DFC: D101002C 0001E52C
	v_add_f32_e64 v45, v45, 1.0                                // 000000006E04: D101002D 0001E52D
	v_add_f32_e64 v46, v46, 1.0                                // 000000006E0C: D101002E 0001E52E
	v_add_f32_e64 v47, v47, 1.0                                // 000000006E14: D101002F 0001E52F
	v_rcp_f32_e32 v44, v44                                     // 000000006E1C: 7E58452C
	v_rcp_f32_e32 v45, v45                                     // 000000006E20: 7E5A452D
	v_rcp_f32_e32 v46, v46                                     // 000000006E24: 7E5C452E
	v_rcp_f32_e32 v47, v47                                     // 000000006E28: 7E5E452F
	v_mul_f32_e32 v136, v136, v44                              // 000000006E2C: 0B105988
	v_mul_f32_e32 v137, v137, v45                              // 000000006E30: 0B125B89
	v_mul_f32_e32 v138, v138, v46                              // 000000006E34: 0B145D8A
	v_mul_f32_e32 v139, v139, v47                              // 000000006E38: 0B165F8B
	v_mul_f32_e32 v136, v136, v72                              // 000000006E3C: 0B109188
	v_mul_f32_e32 v137, v137, v73                              // 000000006E40: 0B129389
	v_mul_f32_e32 v138, v138, v74                              // 000000006E44: 0B14958A
	v_mul_f32_e32 v139, v139, v75                              // 000000006E48: 0B16978B
	buffer_load_dwordx4 a[24:27], v37, s[12:15], 0 offen       // 000000006E4C: E05C1000 80831825
	v_mul_f32_e64 v44, -v140, s6                               // 000000006E54: D105002C 20000D8C
	v_mul_f32_e64 v45, -v141, s6                               // 000000006E5C: D105002D 20000D8D
	v_mul_f32_e64 v46, -v142, s6                               // 000000006E64: D105002E 20000D8E
	v_mul_f32_e64 v47, -v143, s6                               // 000000006E6C: D105002F 20000D8F
	v_exp_f32_e32 v44, v44                                     // 000000006E74: 7E58412C
	v_exp_f32_e32 v45, v45                                     // 000000006E78: 7E5A412D
	v_exp_f32_e32 v46, v46                                     // 000000006E7C: 7E5C412E
	v_exp_f32_e32 v47, v47                                     // 000000006E80: 7E5E412F
	buffer_load_dwordx4 a[28:31], v38, s[12:15], 0 offen       // 000000006E84: E05C1000 80831C26
	s_add_u32 s12, s78, s12                                    // 000000006E8C: 800C0C4E
	s_addc_u32 s13, 0, s13                                     // 000000006E90: 820D0D80
	v_add_f32_e64 v44, v44, 1.0                                // 000000006E94: D101002C 0001E52C
	v_add_f32_e64 v45, v45, 1.0                                // 000000006E9C: D101002D 0001E52D
	v_add_f32_e64 v46, v46, 1.0                                // 000000006EA4: D101002E 0001E52E
	v_add_f32_e64 v47, v47, 1.0                                // 000000006EAC: D101002F 0001E52F
	v_rcp_f32_e32 v44, v44                                     // 000000006EB4: 7E58452C
	v_rcp_f32_e32 v45, v45                                     // 000000006EB8: 7E5A452D
	v_rcp_f32_e32 v46, v46                                     // 000000006EBC: 7E5C452E
	v_rcp_f32_e32 v47, v47                                     // 000000006EC0: 7E5E452F
	v_mul_f32_e32 v140, v140, v44                              // 000000006EC4: 0B18598C
	v_mul_f32_e32 v141, v141, v45                              // 000000006EC8: 0B1A5B8D
	v_mul_f32_e32 v142, v142, v46                              // 000000006ECC: 0B1C5D8E
	v_mul_f32_e32 v143, v143, v47                              // 000000006ED0: 0B1E5F8F
	v_mul_f32_e32 v140, v140, v76                              // 000000006ED4: 0B18998C
	v_mul_f32_e32 v141, v141, v77                              // 000000006ED8: 0B1A9B8D
	v_mul_f32_e32 v142, v142, v78                              // 000000006EDC: 0B1C9D8E
	v_mul_f32_e32 v143, v143, v79                              // 000000006EE0: 0B1E9F8F
	s_waitcnt vmcnt(8)                                         // 000000006EE4: BF8C0F78
	buffer_load_dwordx4 a[32:35], v35, s[12:15], 0 offen       // 000000006EE8: E05C1000 80832023
	v_mul_f32_e64 v44, -v144, s6                               // 000000006EF0: D105002C 20000D90
	v_mul_f32_e64 v45, -v145, s6                               // 000000006EF8: D105002D 20000D91
	v_mul_f32_e64 v46, -v146, s6                               // 000000006F00: D105002E 20000D92
	v_mul_f32_e64 v47, -v147, s6                               // 000000006F08: D105002F 20000D93
	v_exp_f32_e32 v44, v44                                     // 000000006F10: 7E58412C
	v_exp_f32_e32 v45, v45                                     // 000000006F14: 7E5A412D
	v_exp_f32_e32 v46, v46                                     // 000000006F18: 7E5C412E
	v_exp_f32_e32 v47, v47                                     // 000000006F1C: 7E5E412F
	buffer_load_dwordx4 a[36:39], v36, s[12:15], 0 offen       // 000000006F20: E05C1000 80832424
	v_add_f32_e64 v44, v44, 1.0                                // 000000006F28: D101002C 0001E52C
	v_add_f32_e64 v45, v45, 1.0                                // 000000006F30: D101002D 0001E52D
	v_add_f32_e64 v46, v46, 1.0                                // 000000006F38: D101002E 0001E52E
	v_add_f32_e64 v47, v47, 1.0                                // 000000006F40: D101002F 0001E52F
	v_rcp_f32_e32 v44, v44                                     // 000000006F48: 7E58452C
	v_rcp_f32_e32 v45, v45                                     // 000000006F4C: 7E5A452D
	v_rcp_f32_e32 v46, v46                                     // 000000006F50: 7E5C452E
	v_rcp_f32_e32 v47, v47                                     // 000000006F54: 7E5E452F
	v_mul_f32_e32 v144, v144, v44                              // 000000006F58: 0B205990
	v_mul_f32_e32 v145, v145, v45                              // 000000006F5C: 0B225B91
	v_mul_f32_e32 v146, v146, v46                              // 000000006F60: 0B245D92
	v_mul_f32_e32 v147, v147, v47                              // 000000006F64: 0B265F93
	v_mul_f32_e32 v144, v144, v80                              // 000000006F68: 0B20A190
	v_mul_f32_e32 v145, v145, v81                              // 000000006F6C: 0B22A391
	v_mul_f32_e32 v146, v146, v82                              // 000000006F70: 0B24A592
	v_mul_f32_e32 v147, v147, v83                              // 000000006F74: 0B26A793
	buffer_load_dwordx4 a[40:43], v37, s[12:15], 0 offen       // 000000006F78: E05C1000 80832825
	v_mul_f32_e64 v44, -v148, s6                               // 000000006F80: D105002C 20000D94
	v_mul_f32_e64 v45, -v149, s6                               // 000000006F88: D105002D 20000D95
	v_mul_f32_e64 v46, -v150, s6                               // 000000006F90: D105002E 20000D96
	v_mul_f32_e64 v47, -v151, s6                               // 000000006F98: D105002F 20000D97
	v_exp_f32_e32 v44, v44                                     // 000000006FA0: 7E58412C
	v_exp_f32_e32 v45, v45                                     // 000000006FA4: 7E5A412D
	v_exp_f32_e32 v46, v46                                     // 000000006FA8: 7E5C412E
	v_exp_f32_e32 v47, v47                                     // 000000006FAC: 7E5E412F
	buffer_load_dwordx4 a[44:47], v38, s[12:15], 0 offen       // 000000006FB0: E05C1000 80832C26
	v_add_f32_e64 v44, v44, 1.0                                // 000000006FB8: D101002C 0001E52C
	v_add_f32_e64 v45, v45, 1.0                                // 000000006FC0: D101002D 0001E52D
	v_add_f32_e64 v46, v46, 1.0                                // 000000006FC8: D101002E 0001E52E
	v_add_f32_e64 v47, v47, 1.0                                // 000000006FD0: D101002F 0001E52F
	v_rcp_f32_e32 v44, v44                                     // 000000006FD8: 7E58452C
	v_rcp_f32_e32 v45, v45                                     // 000000006FDC: 7E5A452D
	v_rcp_f32_e32 v46, v46                                     // 000000006FE0: 7E5C452E
	v_rcp_f32_e32 v47, v47                                     // 000000006FE4: 7E5E452F
	v_mul_f32_e32 v148, v148, v44                              // 000000006FE8: 0B285994
	v_mul_f32_e32 v149, v149, v45                              // 000000006FEC: 0B2A5B95
	v_mul_f32_e32 v150, v150, v46                              // 000000006FF0: 0B2C5D96
	v_mul_f32_e32 v151, v151, v47                              // 000000006FF4: 0B2E5F97
	v_mul_f32_e32 v148, v148, v84                              // 000000006FF8: 0B28A994
	v_mul_f32_e32 v149, v149, v85                              // 000000006FFC: 0B2AAB95
	v_mul_f32_e32 v150, v150, v86                              // 000000007000: 0B2CAD96
	v_mul_f32_e32 v151, v151, v87                              // 000000007004: 0B2EAF97
	v_mul_f32_dpp v128, v16, v128 row_newbcast:0 row_mask:0xf bank_mask:0xf// 000000007008: 0B0100FA FF015010
	v_mul_f32_dpp v129, v16, v129 row_newbcast:1 row_mask:0xf bank_mask:0xf// 000000007010: 0B0302FA FF015110
	v_mul_f32_dpp v130, v16, v130 row_newbcast:2 row_mask:0xf bank_mask:0xf// 000000007018: 0B0504FA FF015210
	v_mul_f32_dpp v131, v16, v131 row_newbcast:3 row_mask:0xf bank_mask:0xf// 000000007020: 0B0706FA FF015310
	v_mul_f32_dpp v132, v16, v132 row_newbcast:0 row_mask:0xf bank_mask:0xf// 000000007028: 0B0908FA FF015010
	v_mul_f32_dpp v133, v16, v133 row_newbcast:1 row_mask:0xf bank_mask:0xf// 000000007030: 0B0B0AFA FF015110
	v_mul_f32_dpp v134, v16, v134 row_newbcast:2 row_mask:0xf bank_mask:0xf// 000000007038: 0B0D0CFA FF015210
	v_mul_f32_dpp v135, v16, v135 row_newbcast:3 row_mask:0xf bank_mask:0xf// 000000007040: 0B0F0EFA FF015310
	v_mul_f32_dpp v136, v16, v136 row_newbcast:4 row_mask:0xf bank_mask:0xf// 000000007048: 0B1110FA FF015410
	v_mul_f32_dpp v137, v16, v137 row_newbcast:5 row_mask:0xf bank_mask:0xf// 000000007050: 0B1312FA FF015510
	v_mul_f32_dpp v138, v16, v138 row_newbcast:6 row_mask:0xf bank_mask:0xf// 000000007058: 0B1514FA FF015610
	v_mul_f32_dpp v139, v16, v139 row_newbcast:7 row_mask:0xf bank_mask:0xf// 000000007060: 0B1716FA FF015710
	v_mul_f32_dpp v140, v16, v140 row_newbcast:4 row_mask:0xf bank_mask:0xf// 000000007068: 0B1918FA FF015410
	v_mul_f32_dpp v141, v16, v141 row_newbcast:5 row_mask:0xf bank_mask:0xf// 000000007070: 0B1B1AFA FF015510
	v_mul_f32_dpp v142, v16, v142 row_newbcast:6 row_mask:0xf bank_mask:0xf// 000000007078: 0B1D1CFA FF015610
	v_mul_f32_dpp v143, v16, v143 row_newbcast:7 row_mask:0xf bank_mask:0xf// 000000007080: 0B1F1EFA FF015710
	v_mul_f32_dpp v144, v16, v144 row_newbcast:8 row_mask:0xf bank_mask:0xf// 000000007088: 0B2120FA FF015810
	v_mul_f32_dpp v145, v16, v145 row_newbcast:9 row_mask:0xf bank_mask:0xf// 000000007090: 0B2322FA FF015910
	v_mul_f32_dpp v146, v16, v146 row_newbcast:10 row_mask:0xf bank_mask:0xf// 000000007098: 0B2524FA FF015A10
	v_mul_f32_dpp v147, v16, v147 row_newbcast:11 row_mask:0xf bank_mask:0xf// 0000000070A0: 0B2726FA FF015B10
	v_mul_f32_dpp v148, v16, v148 row_newbcast:8 row_mask:0xf bank_mask:0xf// 0000000070A8: 0B2928FA FF015810
	v_mul_f32_dpp v149, v16, v149 row_newbcast:9 row_mask:0xf bank_mask:0xf// 0000000070B0: 0B2B2AFA FF015910
	v_mul_f32_dpp v150, v16, v150 row_newbcast:10 row_mask:0xf bank_mask:0xf// 0000000070B8: 0B2D2CFA FF015A10
	v_mul_f32_dpp v151, v16, v151 row_newbcast:11 row_mask:0xf bank_mask:0xf// 0000000070C0: 0B2F2EFA FF015B10
	v_lshlrev_b32_e32 v44, 2, v0                               // 0000000070C8: 24580082
	s_mul_i32 s60, s82, s71                                    // 0000000070CC: 923C4752
	v_add_u32_e64 v80, v44, s60                                // 0000000070D0: D1340050 0000792C
	v_mov_b32_e32 v81, 0                                       // 0000000070D8: 7EA20280
	s_mul_i32 s60, s83, s71                                    // 0000000070DC: 923C4753
	v_add_u32_e64 v82, v44, s60                                // 0000000070E0: D1340052 0000792C
	v_mov_b32_e32 v83, 0                                       // 0000000070E8: 7EA60280
	s_mul_i32 s60, s84, s71                                    // 0000000070EC: 923C4754
	v_add_u32_e64 v84, v44, s60                                // 0000000070F0: D1340054 0000792C
	v_mov_b32_e32 v85, 0                                       // 0000000070F8: 7EAA0280
	s_mul_i32 s60, s85, s71                                    // 0000000070FC: 923C4755
	v_add_u32_e64 v86, v44, s60                                // 000000007100: D1340056 0000792C
	v_mov_b32_e32 v87, 0                                       // 000000007108: 7EAE0280
	s_mul_i32 s60, s86, s71                                    // 00000000710C: 923C4756
	v_add_u32_e64 v88, v44, s60                                // 000000007110: D1340058 0000792C
	v_mov_b32_e32 v89, 0                                       // 000000007118: 7EB20280
	s_mul_i32 s60, s87, s71                                    // 00000000711C: 923C4757
	v_add_u32_e64 v90, v44, s60                                // 000000007120: D134005A 0000792C
	v_mov_b32_e32 v91, 0                                       // 000000007128: 7EB60280
	s_mul_i32 s60, s88, s71                                    // 00000000712C: 923C4758
	v_add_u32_e64 v92, v44, s60                                // 000000007130: D134005C 0000792C
	v_mov_b32_e32 v93, 0                                       // 000000007138: 7EBA0280
	s_mul_i32 s60, s89, s71                                    // 00000000713C: 923C4759
	v_add_u32_e64 v94, v44, s60                                // 000000007140: D134005E 0000792C
	v_mov_b32_e32 v95, 0                                       // 000000007148: 7EBE0280
	buffer_load_dword v11, v5, s[16:19], 0 offen               // 00000000714C: E0501000 80040B05
	v_mov_b32_e32 v20, 0x358637bd                              // 000000007154: 7E2802FF 358637BD
	v_mov_b32_e32 v21, 0x358637bd                              // 00000000715C: 7E2A02FF 358637BD
	v_max3_f32 v20, |v128|, |v129|, v20                        // 000000007164: D1D30314 04530380
	v_max3_f32 v20, |v130|, |v131|, v20                        // 00000000716C: D1D30314 04530782
	v_max3_f32 v21, |v132|, |v133|, v21                        // 000000007174: D1D30315 04570B84
	v_max3_f32 v21, |v134|, |v135|, v21                        // 00000000717C: D1D30315 04570F86
	v_max3_f32 v20, |v136|, |v137|, v20                        // 000000007184: D1D30314 04531388
	v_max3_f32 v20, |v138|, |v139|, v20                        // 00000000718C: D1D30314 0453178A
	v_max3_f32 v21, |v140|, |v141|, v21                        // 000000007194: D1D30315 04571B8C
	v_max3_f32 v21, |v142|, |v143|, v21                        // 00000000719C: D1D30315 04571F8E
	v_max3_f32 v20, |v144|, |v145|, v20                        // 0000000071A4: D1D30314 04532390
	v_max3_f32 v20, |v146|, |v147|, v20                        // 0000000071AC: D1D30314 04532792
	v_max3_f32 v21, |v148|, |v149|, v21                        // 0000000071B4: D1D30315 04572B94
	v_max3_f32 v21, |v150|, |v151|, v21                        // 0000000071BC: D1D30315 04572F96
	v_lshlrev_b32_e32 v44, 3, v0                               // 0000000071C4: 24580083
	s_mul_i32 s60, 0x200, s7                                   // 0000000071C8: 923C07FF 00000200
	v_add_u32_e32 v44, s60, v44                                // 0000000071D0: 6858583C
	ds_write_b64 v44, v[20:21] offset:16640                    // 0000000071D4: D89A4100 0000142C
	s_waitcnt lgkmcnt(0)                                       // 0000000071DC: BF8CC07F
	s_barrier                                                  // 0000000071E0: BF8A0000
	v_and_b32_e32 v44, 15, v0                                  // 0000000071E4: 2658008F
	v_lshlrev_b32_e32 v44, 3, v44                              // 0000000071E8: 24585883
	ds_read_b64 v[96:97], v44 offset:16640                     // 0000000071EC: D8EC4100 6000002C
	ds_read_b64 v[98:99], v44 offset:16768                     // 0000000071F4: D8EC4180 6200002C
	ds_read_b64 v[100:101], v44 offset:16896                   // 0000000071FC: D8EC4200 6400002C
	ds_read_b64 v[102:103], v44 offset:17024                   // 000000007204: D8EC4280 6600002C
	ds_read_b64 v[104:105], v44 offset:17152                   // 00000000720C: D8EC4300 6800002C
	ds_read_b64 v[106:107], v44 offset:17280                   // 000000007214: D8EC4380 6A00002C
	ds_read_b64 v[108:109], v44 offset:17408                   // 00000000721C: D8EC4400 6C00002C
	ds_read_b64 v[110:111], v44 offset:17536                   // 000000007224: D8EC4480 6E00002C
	ds_read_b64 v[112:113], v44 offset:17664                   // 00000000722C: D8EC4500 7000002C
	ds_read_b64 v[114:115], v44 offset:17792                   // 000000007234: D8EC4580 7200002C
	ds_read_b64 v[116:117], v44 offset:17920                   // 00000000723C: D8EC4600 7400002C
	ds_read_b64 v[118:119], v44 offset:18048                   // 000000007244: D8EC4680 7600002C
	ds_read_b64 v[120:121], v44 offset:18176                   // 00000000724C: D8EC4700 7800002C
	ds_read_b64 v[122:123], v44 offset:18304                   // 000000007254: D8EC4780 7A00002C
	ds_read_b64 v[124:125], v44 offset:18432                   // 00000000725C: D8EC4800 7C00002C
	ds_read_b64 v[126:127], v44 offset:18560                   // 000000007264: D8EC4880 7E00002C
	s_waitcnt lgkmcnt(0)                                       // 00000000726C: BF8CC07F
	v_max3_f32 v20, |v96|, |v98|, v20                          // 000000007270: D1D30314 0452C560
	v_max3_f32 v21, |v97|, |v99|, v21                          // 000000007278: D1D30315 0456C761
	v_max3_f32 v20, |v100|, |v102|, v20                        // 000000007280: D1D30314 0452CD64
	v_max3_f32 v21, |v101|, |v103|, v21                        // 000000007288: D1D30315 0456CF65
	v_max3_f32 v20, |v104|, |v106|, v20                        // 000000007290: D1D30314 0452D568
	v_max3_f32 v21, |v105|, |v107|, v21                        // 000000007298: D1D30315 0456D769
	v_max3_f32 v20, |v108|, |v110|, v20                        // 0000000072A0: D1D30314 0452DD6C
	v_max3_f32 v21, |v109|, |v111|, v21                        // 0000000072A8: D1D30315 0456DF6D
	v_max3_f32 v20, |v112|, |v114|, v20                        // 0000000072B0: D1D30314 0452E570
	v_max3_f32 v21, |v113|, |v115|, v21                        // 0000000072B8: D1D30315 0456E771
	v_max3_f32 v20, |v116|, |v118|, v20                        // 0000000072C0: D1D30314 0452ED74
	v_max3_f32 v21, |v117|, |v119|, v21                        // 0000000072C8: D1D30315 0456EF75
	v_max3_f32 v20, |v120|, |v122|, v20                        // 0000000072D0: D1D30314 0452F578
	v_max3_f32 v21, |v121|, |v123|, v21                        // 0000000072D8: D1D30315 0456F779
	v_max3_f32 v20, |v124|, |v126|, v20                        // 0000000072E0: D1D30314 0452FD7C
	v_max3_f32 v21, |v125|, |v127|, v21                        // 0000000072E8: D1D30315 0456FF7D
	v_rcp_f32_e32 v20, v20                                     // 0000000072F0: 7E284514
	v_rcp_f32_e32 v21, v21                                     // 0000000072F4: 7E2A4515
	v_mov_b32_e32 v44, 0x43700000                              // 0000000072F8: 7E5802FF 43700000
	v_mul_f32_e32 v20, v44, v20                                // 000000007300: 0A28292C
	v_mul_f32_e32 v21, v44, v21                                // 000000007304: 0A2A2B2C
	v_mul_f32_e32 v128, v20, v128                              // 000000007308: 0B010114
	v_mul_f32_e32 v129, v20, v129                              // 00000000730C: 0B030314
	v_mul_f32_e32 v130, v20, v130                              // 000000007310: 0B050514
	v_mul_f32_e32 v131, v20, v131                              // 000000007314: 0B070714
	v_cvt_pk_fp8_f32 v128, v128, v129                          // 000000007318: D2A20080 00030380
	v_cvt_pk_fp8_f32 v128, v130, v131 op_sel:[0,0,1]           // 000000007320: D2A24080 00030782
	v_mul_f32_e32 v132, v21, v132                              // 000000007328: 0B090915
	v_mul_f32_e32 v133, v21, v133                              // 00000000732C: 0B0B0B15
	v_mul_f32_e32 v134, v21, v134                              // 000000007330: 0B0D0D15
	v_mul_f32_e32 v135, v21, v135                              // 000000007334: 0B0F0F15
	v_cvt_pk_fp8_f32 v129, v132, v133                          // 000000007338: D2A20081 00030B84
	v_cvt_pk_fp8_f32 v129, v134, v135 op_sel:[0,0,1]           // 000000007340: D2A24081 00030F86
	v_mul_f32_e32 v136, v20, v136                              // 000000007348: 0B111114
	v_mul_f32_e32 v137, v20, v137                              // 00000000734C: 0B131314
	v_mul_f32_e32 v138, v20, v138                              // 000000007350: 0B151514
	v_mul_f32_e32 v139, v20, v139                              // 000000007354: 0B171714
	v_cvt_pk_fp8_f32 v130, v136, v137                          // 000000007358: D2A20082 00031388
	v_cvt_pk_fp8_f32 v130, v138, v139 op_sel:[0,0,1]           // 000000007360: D2A24082 0003178A
	v_mul_f32_e32 v140, v21, v140                              // 000000007368: 0B191915
	v_mul_f32_e32 v141, v21, v141                              // 00000000736C: 0B1B1B15
	v_mul_f32_e32 v142, v21, v142                              // 000000007370: 0B1D1D15
	v_mul_f32_e32 v143, v21, v143                              // 000000007374: 0B1F1F15
	v_cvt_pk_fp8_f32 v131, v140, v141                          // 000000007378: D2A20083 00031B8C
	v_cvt_pk_fp8_f32 v131, v142, v143 op_sel:[0,0,1]           // 000000007380: D2A24083 00031F8E
	v_mul_f32_e32 v144, v20, v144                              // 000000007388: 0B212114
	v_mul_f32_e32 v145, v20, v145                              // 00000000738C: 0B232314
	v_mul_f32_e32 v146, v20, v146                              // 000000007390: 0B252514
	v_mul_f32_e32 v147, v20, v147                              // 000000007394: 0B272714
	v_cvt_pk_fp8_f32 v132, v144, v145                          // 000000007398: D2A20084 00032390
	v_cvt_pk_fp8_f32 v132, v146, v147 op_sel:[0,0,1]           // 0000000073A0: D2A24084 00032792
	v_mul_f32_e32 v148, v21, v148                              // 0000000073A8: 0B292915
	v_mul_f32_e32 v149, v21, v149                              // 0000000073AC: 0B2B2B15
	v_mul_f32_e32 v150, v21, v150                              // 0000000073B0: 0B2D2D15
	v_mul_f32_e32 v151, v21, v151                              // 0000000073B4: 0B2F2F15
	v_cvt_pk_fp8_f32 v133, v148, v149                          // 0000000073B8: D2A20085 00032B94
	v_cvt_pk_fp8_f32 v133, v150, v151 op_sel:[0,0,1]           // 0000000073C0: D2A24085 00032F96
	v_rcp_f32_e32 v22, v20                                     // 0000000073C8: 7E2C4514
	v_rcp_f32_e32 v23, v21                                     // 0000000073CC: 7E2E4515
	v_lshrrev_b32_e32 v44, 5, v0                               // 0000000073D0: 20580085
	v_lshlrev_b32_e32 v45, 5, v44                              // 0000000073D4: 245A5885
	v_and_b32_e32 v44, 31, v0                                  // 0000000073D8: 2658009F
	v_lshrrev_b32_e32 v46, 4, v44                              // 0000000073DC: 205C5884
	v_add_u32_e32 v45, v46, v45                                // 0000000073E0: 685A5B2E
	v_and_b32_e32 v44, 15, v0                                  // 0000000073E4: 2658008F
	v_lshlrev_b32_e32 v44, 1, v44                              // 0000000073E8: 24585881
	v_add_u32_e32 v45, v44, v45                                // 0000000073EC: 685A5B2C
	v_lshlrev_b32_e32 v44, 2, v45                              // 0000000073F0: 24585A82
	s_mul_i32 s60, 0x100, s7                                   // 0000000073F4: 923C07FF 00000100
	v_add_u32_e64 v44, v44, s60                                // 0000000073FC: D134002C 0000792C
	ds_write_b32 v44, v128 offset:18688                        // 000000007404: D81A4900 0000802C
	ds_write_b32 v44, v129 offset:21760                        // 00000000740C: D81A5500 0000812C
	ds_write_b32 v44, v130 offset:19712                        // 000000007414: D81A4D00 0000822C
	ds_write_b32 v44, v131 offset:22784                        // 00000000741C: D81A5900 0000832C
	ds_write_b32 v44, v132 offset:20736                        // 000000007424: D81A5100 0000842C
	ds_write_b32 v44, v133 offset:23808                        // 00000000742C: D81A5D00 0000852C
	s_waitcnt lgkmcnt(0)                                       // 000000007434: BF8CC07F
	s_barrier                                                  // 000000007438: BF8A0000
	v_lshrrev_b32_e32 v44, 4, v0                               // 00000000743C: 20580084
	v_lshlrev_b32_e32 v45, 6, v44                              // 000000007440: 245A5886
	v_and_b32_e32 v44, 15, v0                                  // 000000007444: 2658008F
	v_lshlrev_b32_e32 v44, 1, v44                              // 000000007448: 24585881
	v_add_u32_e32 v45, v44, v45                                // 00000000744C: 685A5B2C
	v_lshlrev_b32_e32 v44, 2, v45                              // 000000007450: 24585A82
	ds_read_b64 v[128:129], v44 offset:18688                   // 000000007454: D8EC4900 8000002C
	ds_read_b64 v[130:131], v44 offset:18816                   // 00000000745C: D8EC4980 8200002C
	ds_read_b64 v[132:133], v44 offset:19712                   // 000000007464: D8EC4D00 8400002C
	ds_read_b64 v[134:135], v44 offset:19840                   // 00000000746C: D8EC4D80 8600002C
	ds_read_b64 v[136:137], v44 offset:20736                   // 000000007474: D8EC5100 8800002C
	ds_read_b64 v[138:139], v44 offset:20864                   // 00000000747C: D8EC5180 8A00002C
	ds_read_b64 v[140:141], v44 offset:21760                   // 000000007484: D8EC5500 8C00002C
	ds_read_b64 v[142:143], v44 offset:21888                   // 00000000748C: D8EC5580 8E00002C
	ds_read_b64 v[144:145], v44 offset:22784                   // 000000007494: D8EC5900 9000002C
	ds_read_b64 v[146:147], v44 offset:22912                   // 00000000749C: D8EC5980 9200002C
	ds_read_b64 v[148:149], v44 offset:23808                   // 0000000074A4: D8EC5D00 9400002C
	ds_read_b64 v[150:151], v44 offset:23936                   // 0000000074AC: D8EC5D80 9600002C
	s_add_u32 s12, s56, s12                                    // 0000000074B4: 800C0C38
	s_addc_u32 s13, 0, s13                                     // 0000000074B8: 820D0D80
	s_add_u32 s16, s79, s16                                    // 0000000074BC: 8010104F
	s_addc_u32 s17, 0, s17                                     // 0000000074C0: 82111180
	s_mov_b32 s80, 0                                           // 0000000074C4: BED00080
	s_waitcnt vmcnt(0) expcnt(0) lgkmcnt(0)                    // 0000000074C8: BF8C0000

00000000000074cc <label_11B3>:
	s_waitcnt vmcnt(25)                                        // 0000000074CC: BF8C4F79
	s_barrier                                                  // 0000000074D0: BF8A0000
	v_mfma_f32_16x16x32_fp8_fp8 v[152:155], a[0:1], v[128:129], 0// 0000000074D4: D3F30098 0A030100
	buffer_load_dwordx4 a[48:51], v35, s[12:15], 0 offen       // 0000000074DC: E05C1000 80833023
	v_mfma_f32_16x16x32_fp8_fp8 v[152:155], a[2:3], v[130:131], v[152:155]// 0000000074E4: D3F30098 0E630502
	v_mfma_f32_16x16x32_fp8_fp8 v[156:159], a[0:1], v[140:141], 0// 0000000074EC: D3F3009C 0A031900
	v_mfma_f32_16x16x32_fp8_fp8 v[156:159], a[2:3], v[142:143], v[156:159]// 0000000074F4: D3F3009C 0E731D02
	v_mfma_f32_16x16x32_fp8_fp8 v[160:163], a[4:5], v[128:129], 0// 0000000074FC: D3F300A0 0A030104
	buffer_load_dwordx4 a[52:55], v36, s[12:15], 0 offen       // 000000007504: E05C1000 80833424
	v_mfma_f32_16x16x32_fp8_fp8 v[160:163], a[6:7], v[130:131], v[160:163]// 00000000750C: D3F300A0 0E830506
	v_mfma_f32_16x16x32_fp8_fp8 v[164:167], a[4:5], v[140:141], 0// 000000007514: D3F300A4 0A031904
	v_mfma_f32_16x16x32_fp8_fp8 v[164:167], a[6:7], v[142:143], v[164:167]// 00000000751C: D3F300A4 0E931D06
	v_mfma_f32_16x16x32_fp8_fp8 v[168:171], a[8:9], v[128:129], 0// 000000007524: D3F300A8 0A030108
	buffer_load_dwordx4 a[56:59], v37, s[12:15], 0 offen       // 00000000752C: E05C1000 80833825
	v_mfma_f32_16x16x32_fp8_fp8 v[168:171], a[10:11], v[130:131], v[168:171]// 000000007534: D3F300A8 0EA3050A
	v_mfma_f32_16x16x32_fp8_fp8 v[172:175], a[8:9], v[140:141], 0// 00000000753C: D3F300AC 0A031908
	v_mfma_f32_16x16x32_fp8_fp8 v[172:175], a[10:11], v[142:143], v[172:175]// 000000007544: D3F300AC 0EB31D0A
	v_mfma_f32_16x16x32_fp8_fp8 v[176:179], a[12:13], v[128:129], 0// 00000000754C: D3F300B0 0A03010C
	buffer_load_dwordx4 a[60:63], v38, s[12:15], 0 offen       // 000000007554: E05C1000 80833C26
	s_add_u32 s12, s78, s12                                    // 00000000755C: 800C0C4E
	s_addc_u32 s13, 0, s13                                     // 000000007560: 820D0D80
	v_mfma_f32_16x16x32_fp8_fp8 v[176:179], a[14:15], v[130:131], v[176:179]// 000000007564: D3F300B0 0EC3050E
	v_mfma_f32_16x16x32_fp8_fp8 v[180:183], a[12:13], v[140:141], 0// 00000000756C: D3F300B4 0A03190C
	v_mfma_f32_16x16x32_fp8_fp8 v[180:183], a[14:15], v[142:143], v[180:183]// 000000007574: D3F300B4 0ED31D0E
	s_waitcnt vmcnt(25)                                        // 00000000757C: BF8C4F79
	v_mfma_f32_16x16x32_fp8_fp8 v[152:155], a[16:17], v[132:133], v[152:155]// 000000007580: D3F30098 0E630910
	buffer_load_dwordx4 a[64:67], v35, s[12:15], 0 offen       // 000000007588: E05C1000 80834023
	v_mfma_f32_16x16x32_fp8_fp8 v[152:155], a[18:19], v[134:135], v[152:155]// 000000007590: D3F30098 0E630D12
	v_mfma_f32_16x16x32_fp8_fp8 v[156:159], a[16:17], v[144:145], v[156:159]// 000000007598: D3F3009C 0E732110
	v_mfma_f32_16x16x32_fp8_fp8 v[156:159], a[18:19], v[146:147], v[156:159]// 0000000075A0: D3F3009C 0E732512
	v_mfma_f32_16x16x32_fp8_fp8 v[160:163], a[20:21], v[132:133], v[160:163]// 0000000075A8: D3F300A0 0E830914
	buffer_load_dwordx4 a[68:71], v36, s[12:15], 0 offen       // 0000000075B0: E05C1000 80834424
	v_mfma_f32_16x16x32_fp8_fp8 v[160:163], a[22:23], v[134:135], v[160:163]// 0000000075B8: D3F300A0 0E830D16
	v_mfma_f32_16x16x32_fp8_fp8 v[164:167], a[20:21], v[144:145], v[164:167]// 0000000075C0: D3F300A4 0E932114
	v_mfma_f32_16x16x32_fp8_fp8 v[164:167], a[22:23], v[146:147], v[164:167]// 0000000075C8: D3F300A4 0E932516
	v_mfma_f32_16x16x32_fp8_fp8 v[168:171], a[24:25], v[132:133], v[168:171]// 0000000075D0: D3F300A8 0EA30918
	buffer_load_dwordx4 a[72:75], v37, s[12:15], 0 offen       // 0000000075D8: E05C1000 80834825
	v_mfma_f32_16x16x32_fp8_fp8 v[168:171], a[26:27], v[134:135], v[168:171]// 0000000075E0: D3F300A8 0EA30D1A
	v_mfma_f32_16x16x32_fp8_fp8 v[172:175], a[24:25], v[144:145], v[172:175]// 0000000075E8: D3F300AC 0EB32118
	v_mfma_f32_16x16x32_fp8_fp8 v[172:175], a[26:27], v[146:147], v[172:175]// 0000000075F0: D3F300AC 0EB3251A
	v_mfma_f32_16x16x32_fp8_fp8 v[176:179], a[28:29], v[132:133], v[176:179]// 0000000075F8: D3F300B0 0EC3091C
	buffer_load_dwordx4 a[76:79], v38, s[12:15], 0 offen       // 000000007600: E05C1000 80834C26
	s_add_u32 s12, s78, s12                                    // 000000007608: 800C0C4E
	s_addc_u32 s13, 0, s13                                     // 00000000760C: 820D0D80
	v_mfma_f32_16x16x32_fp8_fp8 v[176:179], a[30:31], v[134:135], v[176:179]// 000000007610: D3F300B0 0EC30D1E
	v_mfma_f32_16x16x32_fp8_fp8 v[180:183], a[28:29], v[144:145], v[180:183]// 000000007618: D3F300B4 0ED3211C
	v_mfma_f32_16x16x32_fp8_fp8 v[180:183], a[30:31], v[146:147], v[180:183]// 000000007620: D3F300B4 0ED3251E
	s_waitcnt vmcnt(24)                                        // 000000007628: BF8C4F78
	v_mfma_f32_16x16x32_fp8_fp8 v[152:155], a[32:33], v[136:137], v[152:155]// 00000000762C: D3F30098 0E631120
	buffer_load_dwordx4 a[80:83], v35, s[12:15], 0 offen       // 000000007634: E05C1000 80835023
	v_mfma_f32_16x16x32_fp8_fp8 v[152:155], a[34:35], v[138:139], v[152:155]// 00000000763C: D3F30098 0E631522
	v_mfma_f32_16x16x32_fp8_fp8 v[156:159], a[32:33], v[148:149], v[156:159]// 000000007644: D3F3009C 0E732920
	buffer_load_dword v12, v5, s[16:19], 0 offen               // 00000000764C: E0501000 80040C05
	v_mfma_f32_16x16x32_fp8_fp8 v[156:159], a[34:35], v[150:151], v[156:159]// 000000007654: D3F3009C 0E732D22
	v_mfma_f32_16x16x32_fp8_fp8 v[160:163], a[36:37], v[136:137], v[160:163]// 00000000765C: D3F300A0 0E831124
	buffer_load_dwordx4 a[84:87], v36, s[12:15], 0 offen       // 000000007664: E05C1000 80835424
	v_mfma_f32_16x16x32_fp8_fp8 v[160:163], a[38:39], v[138:139], v[160:163]// 00000000766C: D3F300A0 0E831526
	v_mfma_f32_16x16x32_fp8_fp8 v[164:167], a[36:37], v[148:149], v[164:167]// 000000007674: D3F300A4 0E932924
	v_mfma_f32_16x16x32_fp8_fp8 v[164:167], a[38:39], v[150:151], v[164:167]// 00000000767C: D3F300A4 0E932D26
	v_mfma_f32_16x16x32_fp8_fp8 v[168:171], a[40:41], v[136:137], v[168:171]// 000000007684: D3F300A8 0EA31128
	buffer_load_dwordx4 a[88:91], v37, s[12:15], 0 offen       // 00000000768C: E05C1000 80835825
	v_mfma_f32_16x16x32_fp8_fp8 v[168:171], a[42:43], v[138:139], v[168:171]// 000000007694: D3F300A8 0EA3152A
	v_mfma_f32_16x16x32_fp8_fp8 v[172:175], a[40:41], v[148:149], v[172:175]// 00000000769C: D3F300AC 0EB32928
	v_mfma_f32_16x16x32_fp8_fp8 v[172:175], a[42:43], v[150:151], v[172:175]// 0000000076A4: D3F300AC 0EB32D2A
	v_mfma_f32_16x16x32_fp8_fp8 v[176:179], a[44:45], v[136:137], v[176:179]// 0000000076AC: D3F300B0 0EC3112C
	buffer_load_dwordx4 a[92:95], v38, s[12:15], 0 offen       // 0000000076B4: E05C1000 80835C26
	v_mfma_f32_16x16x32_fp8_fp8 v[176:179], a[46:47], v[138:139], v[176:179]// 0000000076BC: D3F300B0 0EC3152E
	v_mfma_f32_16x16x32_fp8_fp8 v[180:183], a[44:45], v[148:149], v[180:183]// 0000000076C4: D3F300B4 0ED3292C
	v_mfma_f32_16x16x32_fp8_fp8 v[180:183], a[46:47], v[150:151], v[180:183]// 0000000076CC: D3F300B4 0ED32D2E
	s_add_u32 s60, 0x200, s80                                  // 0000000076D4: 803C50FF 00000200
	s_cmp_lt_u32 s60, s81                                      // 0000000076DC: BF0A513C
	s_cselect_b32 s56, s56, 0                                  // 0000000076E0: 85388038
	s_cselect_b32 s78, s78, 0                                  // 0000000076E4: 854E804E
	s_cselect_b32 s79, s79, 0                                  // 0000000076E8: 854F804F
	s_add_u32 s12, s56, s12                                    // 0000000076EC: 800C0C38
	s_addc_u32 s13, 0, s13                                     // 0000000076F0: 820D0D80
	s_add_u32 s16, s79, s16                                    // 0000000076F4: 8010104F
	s_addc_u32 s17, 0, s17                                     // 0000000076F8: 82111180
	v_mul_f32_e32 v152, v22, v152                              // 0000000076FC: 0B313116
	v_mul_f32_e32 v153, v22, v153                              // 000000007700: 0B333316
	v_mul_f32_e32 v154, v22, v154                              // 000000007704: 0B353516
	v_mul_f32_e32 v155, v22, v155                              // 000000007708: 0B373716
	v_mul_f32_dpp v152, v11, v152 row_newbcast:0 row_mask:0xf bank_mask:0xf// 00000000770C: 0B3130FA FF01500B
	v_mul_f32_dpp v153, v11, v153 row_newbcast:1 row_mask:0xf bank_mask:0xf// 000000007714: 0B3332FA FF01510B
	v_mul_f32_dpp v154, v11, v154 row_newbcast:2 row_mask:0xf bank_mask:0xf// 00000000771C: 0B3534FA FF01520B
	v_mul_f32_dpp v155, v11, v155 row_newbcast:3 row_mask:0xf bank_mask:0xf// 000000007724: 0B3736FA FF01530B
	v_mul_f32_e32 v152, v17, v152                              // 00000000772C: 0B313111
	v_mul_f32_e32 v153, v17, v153                              // 000000007730: 0B333311
	v_mul_f32_e32 v154, v17, v154                              // 000000007734: 0B353511
	v_mul_f32_e32 v155, v17, v155                              // 000000007738: 0B373711
	v_mul_f32_e32 v156, v23, v156                              // 00000000773C: 0B393917
	v_mul_f32_e32 v157, v23, v157                              // 000000007740: 0B3B3B17
	v_mul_f32_e32 v158, v23, v158                              // 000000007744: 0B3D3D17
	v_mul_f32_e32 v159, v23, v159                              // 000000007748: 0B3F3F17
	v_mul_f32_dpp v156, v11, v156 row_newbcast:0 row_mask:0xf bank_mask:0xf// 00000000774C: 0B3938FA FF01500B
	v_mul_f32_dpp v157, v11, v157 row_newbcast:1 row_mask:0xf bank_mask:0xf// 000000007754: 0B3B3AFA FF01510B
	v_mul_f32_dpp v158, v11, v158 row_newbcast:2 row_mask:0xf bank_mask:0xf// 00000000775C: 0B3D3CFA FF01520B
	v_mul_f32_dpp v159, v11, v159 row_newbcast:3 row_mask:0xf bank_mask:0xf// 000000007764: 0B3F3EFA FF01530B
	v_mul_f32_e32 v156, v18, v156                              // 00000000776C: 0B393912
	v_mul_f32_e32 v157, v18, v157                              // 000000007770: 0B3B3B12
	v_mul_f32_e32 v158, v18, v158                              // 000000007774: 0B3D3D12
	v_mul_f32_e32 v159, v18, v159                              // 000000007778: 0B3F3F12
	v_mul_f32_e32 v160, v22, v160                              // 00000000777C: 0B414116
	v_mul_f32_e32 v161, v22, v161                              // 000000007780: 0B434316
	v_mul_f32_e32 v162, v22, v162                              // 000000007784: 0B454516
	v_mul_f32_e32 v163, v22, v163                              // 000000007788: 0B474716
	v_mul_f32_dpp v160, v11, v160 row_newbcast:4 row_mask:0xf bank_mask:0xf// 00000000778C: 0B4140FA FF01540B
	v_mul_f32_dpp v161, v11, v161 row_newbcast:5 row_mask:0xf bank_mask:0xf// 000000007794: 0B4342FA FF01550B
	v_mul_f32_dpp v162, v11, v162 row_newbcast:6 row_mask:0xf bank_mask:0xf// 00000000779C: 0B4544FA FF01560B
	v_mul_f32_dpp v163, v11, v163 row_newbcast:7 row_mask:0xf bank_mask:0xf// 0000000077A4: 0B4746FA FF01570B
	v_mul_f32_e32 v160, v17, v160                              // 0000000077AC: 0B414111
	v_mul_f32_e32 v161, v17, v161                              // 0000000077B0: 0B434311
	v_mul_f32_e32 v162, v17, v162                              // 0000000077B4: 0B454511
	v_mul_f32_e32 v163, v17, v163                              // 0000000077B8: 0B474711
	v_mul_f32_e32 v164, v23, v164                              // 0000000077BC: 0B494917
	v_mul_f32_e32 v165, v23, v165                              // 0000000077C0: 0B4B4B17
	v_mul_f32_e32 v166, v23, v166                              // 0000000077C4: 0B4D4D17
	v_mul_f32_e32 v167, v23, v167                              // 0000000077C8: 0B4F4F17
	v_mul_f32_dpp v164, v11, v164 row_newbcast:4 row_mask:0xf bank_mask:0xf// 0000000077CC: 0B4948FA FF01540B
	v_mul_f32_dpp v165, v11, v165 row_newbcast:5 row_mask:0xf bank_mask:0xf// 0000000077D4: 0B4B4AFA FF01550B
	v_mul_f32_dpp v166, v11, v166 row_newbcast:6 row_mask:0xf bank_mask:0xf// 0000000077DC: 0B4D4CFA FF01560B
	v_mul_f32_dpp v167, v11, v167 row_newbcast:7 row_mask:0xf bank_mask:0xf// 0000000077E4: 0B4F4EFA FF01570B
	v_mul_f32_e32 v164, v18, v164                              // 0000000077EC: 0B494912
	v_mul_f32_e32 v165, v18, v165                              // 0000000077F0: 0B4B4B12
	v_mul_f32_e32 v166, v18, v166                              // 0000000077F4: 0B4D4D12
	v_mul_f32_e32 v167, v18, v167                              // 0000000077F8: 0B4F4F12
	v_mul_f32_e32 v168, v22, v168                              // 0000000077FC: 0B515116
	v_mul_f32_e32 v169, v22, v169                              // 000000007800: 0B535316
	v_mul_f32_e32 v170, v22, v170                              // 000000007804: 0B555516
	v_mul_f32_e32 v171, v22, v171                              // 000000007808: 0B575716
	v_mul_f32_dpp v168, v11, v168 row_newbcast:8 row_mask:0xf bank_mask:0xf// 00000000780C: 0B5150FA FF01580B
	v_mul_f32_dpp v169, v11, v169 row_newbcast:9 row_mask:0xf bank_mask:0xf// 000000007814: 0B5352FA FF01590B
	v_mul_f32_dpp v170, v11, v170 row_newbcast:10 row_mask:0xf bank_mask:0xf// 00000000781C: 0B5554FA FF015A0B
	v_mul_f32_dpp v171, v11, v171 row_newbcast:11 row_mask:0xf bank_mask:0xf// 000000007824: 0B5756FA FF015B0B
	v_mul_f32_e32 v168, v17, v168                              // 00000000782C: 0B515111
	v_mul_f32_e32 v169, v17, v169                              // 000000007830: 0B535311
	v_mul_f32_e32 v170, v17, v170                              // 000000007834: 0B555511
	v_mul_f32_e32 v171, v17, v171                              // 000000007838: 0B575711
	v_mul_f32_e32 v172, v23, v172                              // 00000000783C: 0B595917
	v_mul_f32_e32 v173, v23, v173                              // 000000007840: 0B5B5B17
	v_mul_f32_e32 v174, v23, v174                              // 000000007844: 0B5D5D17
	v_mul_f32_e32 v175, v23, v175                              // 000000007848: 0B5F5F17
	v_mul_f32_dpp v172, v11, v172 row_newbcast:8 row_mask:0xf bank_mask:0xf// 00000000784C: 0B5958FA FF01580B
	v_mul_f32_dpp v173, v11, v173 row_newbcast:9 row_mask:0xf bank_mask:0xf// 000000007854: 0B5B5AFA FF01590B
	v_mul_f32_dpp v174, v11, v174 row_newbcast:10 row_mask:0xf bank_mask:0xf// 00000000785C: 0B5D5CFA FF015A0B
	v_mul_f32_dpp v175, v11, v175 row_newbcast:11 row_mask:0xf bank_mask:0xf// 000000007864: 0B5F5EFA FF015B0B
	v_mul_f32_e32 v172, v18, v172                              // 00000000786C: 0B595912
	v_mul_f32_e32 v173, v18, v173                              // 000000007870: 0B5B5B12
	v_mul_f32_e32 v174, v18, v174                              // 000000007874: 0B5D5D12
	v_mul_f32_e32 v175, v18, v175                              // 000000007878: 0B5F5F12
	v_mul_f32_e32 v176, v22, v176                              // 00000000787C: 0B616116
	v_mul_f32_e32 v177, v22, v177                              // 000000007880: 0B636316
	v_mul_f32_e32 v178, v22, v178                              // 000000007884: 0B656516
	v_mul_f32_e32 v179, v22, v179                              // 000000007888: 0B676716
	v_mul_f32_dpp v176, v11, v176 row_newbcast:12 row_mask:0xf bank_mask:0xf// 00000000788C: 0B6160FA FF015C0B
	v_mul_f32_dpp v177, v11, v177 row_newbcast:13 row_mask:0xf bank_mask:0xf// 000000007894: 0B6362FA FF015D0B
	v_mul_f32_dpp v178, v11, v178 row_newbcast:14 row_mask:0xf bank_mask:0xf// 00000000789C: 0B6564FA FF015E0B
	v_mul_f32_dpp v179, v11, v179 row_newbcast:15 row_mask:0xf bank_mask:0xf// 0000000078A4: 0B6766FA FF015F0B
	v_mul_f32_e32 v176, v17, v176                              // 0000000078AC: 0B616111
	v_mul_f32_e32 v177, v17, v177                              // 0000000078B0: 0B636311
	v_mul_f32_e32 v178, v17, v178                              // 0000000078B4: 0B656511
	v_mul_f32_e32 v179, v17, v179                              // 0000000078B8: 0B676711
	v_mul_f32_e32 v180, v23, v180                              // 0000000078BC: 0B696917
	v_mul_f32_e32 v181, v23, v181                              // 0000000078C0: 0B6B6B17
	v_mul_f32_e32 v182, v23, v182                              // 0000000078C4: 0B6D6D17
	v_mul_f32_e32 v183, v23, v183                              // 0000000078C8: 0B6F6F17
	v_mul_f32_dpp v180, v11, v180 row_newbcast:12 row_mask:0xf bank_mask:0xf// 0000000078CC: 0B6968FA FF015C0B
	v_mul_f32_dpp v181, v11, v181 row_newbcast:13 row_mask:0xf bank_mask:0xf// 0000000078D4: 0B6B6AFA FF015D0B
	v_mul_f32_dpp v182, v11, v182 row_newbcast:14 row_mask:0xf bank_mask:0xf// 0000000078DC: 0B6D6CFA FF015E0B
	v_mul_f32_dpp v183, v11, v183 row_newbcast:15 row_mask:0xf bank_mask:0xf// 0000000078E4: 0B6F6EFA FF015F0B
	v_mul_f32_e32 v180, v18, v180                              // 0000000078EC: 0B696912
	v_mul_f32_e32 v181, v18, v181                              // 0000000078F0: 0B6B6B12
	v_mul_f32_e32 v182, v18, v182                              // 0000000078F4: 0B6D6D12
	v_mul_f32_e32 v183, v18, v183                              // 0000000078F8: 0B6F6F12
	v_cmp_u_f32_e64 s[48:49], v152, v152                       // 0000000078FC: D0480030 00033198
	v_add3_u32 v39, v152, v42, 1                               // 000000007904: D1FF0027 02065598
	v_cndmask_b32_e64 v44, v39, v41, s[48:49]                  // 00000000790C: D100002C 00C25327
	v_cmp_u_f32_e64 s[48:49], v153, v153                       // 000000007914: D0480030 00033399
	v_add3_u32 v39, v153, v42, 1                               // 00000000791C: D1FF0027 02065599
	v_cndmask_b32_e64 v45, v39, v41, s[48:49]                  // 000000007924: D100002D 00C25327
	v_perm_b32 v152, v45, v44, s52                             // 00000000792C: D1ED0098 00D2592D
	v_cmp_u_f32_e64 s[48:49], v154, v154                       // 000000007934: D0480030 0003359A
	v_add3_u32 v39, v154, v42, 1                               // 00000000793C: D1FF0027 0206559A
	v_cndmask_b32_e64 v44, v39, v41, s[48:49]                  // 000000007944: D100002C 00C25327
	v_cmp_u_f32_e64 s[48:49], v155, v155                       // 00000000794C: D0480030 0003379B
	v_add3_u32 v39, v155, v42, 1                               // 000000007954: D1FF0027 0206559B
	v_cndmask_b32_e64 v45, v39, v41, s[48:49]                  // 00000000795C: D100002D 00C25327
	v_perm_b32 v153, v45, v44, s52                             // 000000007964: D1ED0099 00D2592D
	v_cmp_u_f32_e64 s[48:49], v156, v156                       // 00000000796C: D0480030 0003399C
	v_add3_u32 v39, v156, v42, 1                               // 000000007974: D1FF0027 0206559C
	v_cndmask_b32_e64 v44, v39, v41, s[48:49]                  // 00000000797C: D100002C 00C25327
	v_cmp_u_f32_e64 s[48:49], v157, v157                       // 000000007984: D0480030 00033B9D
	v_add3_u32 v39, v157, v42, 1                               // 00000000798C: D1FF0027 0206559D
	v_cndmask_b32_e64 v45, v39, v41, s[48:49]                  // 000000007994: D100002D 00C25327
	v_perm_b32 v154, v45, v44, s52                             // 00000000799C: D1ED009A 00D2592D
	v_cmp_u_f32_e64 s[48:49], v158, v158                       // 0000000079A4: D0480030 00033D9E
	v_add3_u32 v39, v158, v42, 1                               // 0000000079AC: D1FF0027 0206559E
	v_cndmask_b32_e64 v44, v39, v41, s[48:49]                  // 0000000079B4: D100002C 00C25327
	v_cmp_u_f32_e64 s[48:49], v159, v159                       // 0000000079BC: D0480030 00033F9F
	v_add3_u32 v39, v159, v42, 1                               // 0000000079C4: D1FF0027 0206559F
	v_cndmask_b32_e64 v45, v39, v41, s[48:49]                  // 0000000079CC: D100002D 00C25327
	v_perm_b32 v155, v45, v44, s52                             // 0000000079D4: D1ED009B 00D2592D
	v_cmp_u_f32_e64 s[48:49], v160, v160                       // 0000000079DC: D0480030 000341A0
	v_add3_u32 v39, v160, v42, 1                               // 0000000079E4: D1FF0027 020655A0
	v_cndmask_b32_e64 v44, v39, v41, s[48:49]                  // 0000000079EC: D100002C 00C25327
	v_cmp_u_f32_e64 s[48:49], v161, v161                       // 0000000079F4: D0480030 000343A1
	v_add3_u32 v39, v161, v42, 1                               // 0000000079FC: D1FF0027 020655A1
	v_cndmask_b32_e64 v45, v39, v41, s[48:49]                  // 000000007A04: D100002D 00C25327
	v_perm_b32 v156, v45, v44, s52                             // 000000007A0C: D1ED009C 00D2592D
	v_cmp_u_f32_e64 s[48:49], v162, v162                       // 000000007A14: D0480030 000345A2
	v_add3_u32 v39, v162, v42, 1                               // 000000007A1C: D1FF0027 020655A2
	v_cndmask_b32_e64 v44, v39, v41, s[48:49]                  // 000000007A24: D100002C 00C25327
	v_cmp_u_f32_e64 s[48:49], v163, v163                       // 000000007A2C: D0480030 000347A3
	v_add3_u32 v39, v163, v42, 1                               // 000000007A34: D1FF0027 020655A3
	v_cndmask_b32_e64 v45, v39, v41, s[48:49]                  // 000000007A3C: D100002D 00C25327
	v_perm_b32 v157, v45, v44, s52                             // 000000007A44: D1ED009D 00D2592D
	v_cmp_u_f32_e64 s[48:49], v164, v164                       // 000000007A4C: D0480030 000349A4
	v_add3_u32 v39, v164, v42, 1                               // 000000007A54: D1FF0027 020655A4
	v_cndmask_b32_e64 v44, v39, v41, s[48:49]                  // 000000007A5C: D100002C 00C25327
	v_cmp_u_f32_e64 s[48:49], v165, v165                       // 000000007A64: D0480030 00034BA5
	v_add3_u32 v39, v165, v42, 1                               // 000000007A6C: D1FF0027 020655A5
	v_cndmask_b32_e64 v45, v39, v41, s[48:49]                  // 000000007A74: D100002D 00C25327
	v_perm_b32 v158, v45, v44, s52                             // 000000007A7C: D1ED009E 00D2592D
	v_cmp_u_f32_e64 s[48:49], v166, v166                       // 000000007A84: D0480030 00034DA6
	v_add3_u32 v39, v166, v42, 1                               // 000000007A8C: D1FF0027 020655A6
	v_cndmask_b32_e64 v44, v39, v41, s[48:49]                  // 000000007A94: D100002C 00C25327
	v_cmp_u_f32_e64 s[48:49], v167, v167                       // 000000007A9C: D0480030 00034FA7
	v_add3_u32 v39, v167, v42, 1                               // 000000007AA4: D1FF0027 020655A7
	v_cndmask_b32_e64 v45, v39, v41, s[48:49]                  // 000000007AAC: D100002D 00C25327
	v_perm_b32 v159, v45, v44, s52                             // 000000007AB4: D1ED009F 00D2592D
	v_cmp_u_f32_e64 s[48:49], v168, v168                       // 000000007ABC: D0480030 000351A8
	v_add3_u32 v39, v168, v42, 1                               // 000000007AC4: D1FF0027 020655A8
	v_cndmask_b32_e64 v44, v39, v41, s[48:49]                  // 000000007ACC: D100002C 00C25327
	v_cmp_u_f32_e64 s[48:49], v169, v169                       // 000000007AD4: D0480030 000353A9
	v_add3_u32 v39, v169, v42, 1                               // 000000007ADC: D1FF0027 020655A9
	v_cndmask_b32_e64 v45, v39, v41, s[48:49]                  // 000000007AE4: D100002D 00C25327
	v_perm_b32 v160, v45, v44, s52                             // 000000007AEC: D1ED00A0 00D2592D
	v_cmp_u_f32_e64 s[48:49], v170, v170                       // 000000007AF4: D0480030 000355AA
	v_add3_u32 v39, v170, v42, 1                               // 000000007AFC: D1FF0027 020655AA
	v_cndmask_b32_e64 v44, v39, v41, s[48:49]                  // 000000007B04: D100002C 00C25327
	v_cmp_u_f32_e64 s[48:49], v171, v171                       // 000000007B0C: D0480030 000357AB
	v_add3_u32 v39, v171, v42, 1                               // 000000007B14: D1FF0027 020655AB
	v_cndmask_b32_e64 v45, v39, v41, s[48:49]                  // 000000007B1C: D100002D 00C25327
	v_perm_b32 v161, v45, v44, s52                             // 000000007B24: D1ED00A1 00D2592D
	v_cmp_u_f32_e64 s[48:49], v172, v172                       // 000000007B2C: D0480030 000359AC
	v_add3_u32 v39, v172, v42, 1                               // 000000007B34: D1FF0027 020655AC
	v_cndmask_b32_e64 v44, v39, v41, s[48:49]                  // 000000007B3C: D100002C 00C25327
	v_cmp_u_f32_e64 s[48:49], v173, v173                       // 000000007B44: D0480030 00035BAD
	v_add3_u32 v39, v173, v42, 1                               // 000000007B4C: D1FF0027 020655AD
	v_cndmask_b32_e64 v45, v39, v41, s[48:49]                  // 000000007B54: D100002D 00C25327
	v_perm_b32 v162, v45, v44, s52                             // 000000007B5C: D1ED00A2 00D2592D
	v_cmp_u_f32_e64 s[48:49], v174, v174                       // 000000007B64: D0480030 00035DAE
	v_add3_u32 v39, v174, v42, 1                               // 000000007B6C: D1FF0027 020655AE
	v_cndmask_b32_e64 v44, v39, v41, s[48:49]                  // 000000007B74: D100002C 00C25327
	v_cmp_u_f32_e64 s[48:49], v175, v175                       // 000000007B7C: D0480030 00035FAF
	v_add3_u32 v39, v175, v42, 1                               // 000000007B84: D1FF0027 020655AF
	v_cndmask_b32_e64 v45, v39, v41, s[48:49]                  // 000000007B8C: D100002D 00C25327
	v_perm_b32 v163, v45, v44, s52                             // 000000007B94: D1ED00A3 00D2592D
	v_cmp_u_f32_e64 s[48:49], v176, v176                       // 000000007B9C: D0480030 000361B0
	v_add3_u32 v39, v176, v42, 1                               // 000000007BA4: D1FF0027 020655B0
	v_cndmask_b32_e64 v44, v39, v41, s[48:49]                  // 000000007BAC: D100002C 00C25327
	v_cmp_u_f32_e64 s[48:49], v177, v177                       // 000000007BB4: D0480030 000363B1
	v_add3_u32 v39, v177, v42, 1                               // 000000007BBC: D1FF0027 020655B1
	v_cndmask_b32_e64 v45, v39, v41, s[48:49]                  // 000000007BC4: D100002D 00C25327
	v_perm_b32 v164, v45, v44, s52                             // 000000007BCC: D1ED00A4 00D2592D
	v_cmp_u_f32_e64 s[48:49], v178, v178                       // 000000007BD4: D0480030 000365B2
	v_add3_u32 v39, v178, v42, 1                               // 000000007BDC: D1FF0027 020655B2
	v_cndmask_b32_e64 v44, v39, v41, s[48:49]                  // 000000007BE4: D100002C 00C25327
	v_cmp_u_f32_e64 s[48:49], v179, v179                       // 000000007BEC: D0480030 000367B3
	v_add3_u32 v39, v179, v42, 1                               // 000000007BF4: D1FF0027 020655B3
	v_cndmask_b32_e64 v45, v39, v41, s[48:49]                  // 000000007BFC: D100002D 00C25327
	v_perm_b32 v165, v45, v44, s52                             // 000000007C04: D1ED00A5 00D2592D
	v_cmp_u_f32_e64 s[48:49], v180, v180                       // 000000007C0C: D0480030 000369B4
	v_add3_u32 v39, v180, v42, 1                               // 000000007C14: D1FF0027 020655B4
	v_cndmask_b32_e64 v44, v39, v41, s[48:49]                  // 000000007C1C: D100002C 00C25327
	v_cmp_u_f32_e64 s[48:49], v181, v181                       // 000000007C24: D0480030 00036BB5
	v_add3_u32 v39, v181, v42, 1                               // 000000007C2C: D1FF0027 020655B5
	v_cndmask_b32_e64 v45, v39, v41, s[48:49]                  // 000000007C34: D100002D 00C25327
	v_perm_b32 v166, v45, v44, s52                             // 000000007C3C: D1ED00A6 00D2592D
	v_cmp_u_f32_e64 s[48:49], v182, v182                       // 000000007C44: D0480030 00036DB6
	v_add3_u32 v39, v182, v42, 1                               // 000000007C4C: D1FF0027 020655B6
	v_cndmask_b32_e64 v44, v39, v41, s[48:49]                  // 000000007C54: D100002C 00C25327
	v_cmp_u_f32_e64 s[48:49], v183, v183                       // 000000007C5C: D0480030 00036FB7
	v_add3_u32 v39, v183, v42, 1                               // 000000007C64: D1FF0027 020655B7
	v_cndmask_b32_e64 v45, v39, v41, s[48:49]                  // 000000007C6C: D100002D 00C25327
	v_perm_b32 v167, v45, v44, s52                             // 000000007C74: D1ED00A7 00D2592D
	ds_write_b64 v3, v[152:153] offset:24832                   // 000000007C7C: D89A6100 00009803
	ds_write_b64 v3, v[154:155] offset:33536                   // 000000007C84: D89A8300 00009A03
	ds_write_b64 v3, v[156:157] offset:27008                   // 000000007C8C: D89A6980 00009C03
	ds_write_b64 v3, v[158:159] offset:35712                   // 000000007C94: D89A8B80 00009E03
	ds_write_b64 v3, v[160:161] offset:29184                   // 000000007C9C: D89A7200 0000A003
	ds_write_b64 v3, v[162:163] offset:37888                   // 000000007CA4: D89A9400 0000A203
	ds_write_b64 v3, v[164:165] offset:31360                   // 000000007CAC: D89A7A80 0000A403
	ds_write_b64 v3, v[166:167] offset:40064                   // 000000007CB4: D89A9C80 0000A603
	s_waitcnt lgkmcnt(0)                                       // 000000007CBC: BF8CC07F
	s_barrier                                                  // 000000007CC0: BF8A0000
	ds_read_b32 v64, v4 offset:24832                           // 000000007CC4: D86C6100 40000004
	ds_read_b32 v65, v4 offset:29184                           // 000000007CCC: D86C7200 41000004
	ds_read_b32 v66, v4 offset:24864                           // 000000007CD4: D86C6120 42000004
	ds_read_b32 v67, v4 offset:29216                           // 000000007CDC: D86C7220 43000004
	ds_read_b32 v68, v4 offset:24896                           // 000000007CE4: D86C6140 44000004
	ds_read_b32 v69, v4 offset:29248                           // 000000007CEC: D86C7240 45000004
	ds_read_b32 v70, v4 offset:24928                           // 000000007CF4: D86C6160 46000004
	ds_read_b32 v71, v4 offset:29280                           // 000000007CFC: D86C7260 47000004
	ds_read_b32 v72, v4 offset:33536                           // 000000007D04: D86C8300 48000004
	ds_read_b32 v73, v4 offset:37888                           // 000000007D0C: D86C9400 49000004
	ds_read_b32 v74, v4 offset:33568                           // 000000007D14: D86C8320 4A000004
	ds_read_b32 v75, v4 offset:37920                           // 000000007D1C: D86C9420 4B000004
	ds_read_b32 v76, v4 offset:33600                           // 000000007D24: D86C8340 4C000004
	ds_read_b32 v77, v4 offset:37952                           // 000000007D2C: D86C9440 4D000004
	ds_read_b32 v78, v4 offset:33632                           // 000000007D34: D86C8360 4E000004
	ds_read_b32 v79, v4 offset:37984                           // 000000007D3C: D86C9460 4F000004
	s_waitcnt lgkmcnt(0)                                       // 000000007D44: BF8CC07F
	s_mov_b64 exec, s[20:21]                                   // 000000007D48: BEFE0114
	global_atomic_pk_add_f16 v80, v64, s[8:9]                  // 000000007D4C: DD388000 00084050
	s_mov_b64 exec, s[36:37]                                   // 000000007D54: BEFE0124
	s_mov_b64 exec, s[20:21]                                   // 000000007D58: BEFE0114
	global_atomic_pk_add_f16 v80, v65, s[8:9] offset:256       // 000000007D5C: DD388100 00084150
	s_mov_b64 exec, s[36:37]                                   // 000000007D64: BEFE0124
	s_mov_b64 exec, s[22:23]                                   // 000000007D68: BEFE0116
	global_atomic_pk_add_f16 v82, v66, s[8:9]                  // 000000007D6C: DD388000 00084252
	s_mov_b64 exec, s[36:37]                                   // 000000007D74: BEFE0124
	s_mov_b64 exec, s[22:23]                                   // 000000007D78: BEFE0116
	global_atomic_pk_add_f16 v82, v67, s[8:9] offset:256       // 000000007D7C: DD388100 00084352
	s_mov_b64 exec, s[36:37]                                   // 000000007D84: BEFE0124
	s_mov_b64 exec, s[24:25]                                   // 000000007D88: BEFE0118
	global_atomic_pk_add_f16 v84, v68, s[8:9]                  // 000000007D8C: DD388000 00084454
	s_mov_b64 exec, s[36:37]                                   // 000000007D94: BEFE0124
	s_mov_b64 exec, s[24:25]                                   // 000000007D98: BEFE0118
	global_atomic_pk_add_f16 v84, v69, s[8:9] offset:256       // 000000007D9C: DD388100 00084554
	s_mov_b64 exec, s[36:37]                                   // 000000007DA4: BEFE0124
	s_mov_b64 exec, s[26:27]                                   // 000000007DA8: BEFE011A
	global_atomic_pk_add_f16 v86, v70, s[8:9]                  // 000000007DAC: DD388000 00084656
	s_mov_b64 exec, s[36:37]                                   // 000000007DB4: BEFE0124
	s_mov_b64 exec, s[26:27]                                   // 000000007DB8: BEFE011A
	global_atomic_pk_add_f16 v86, v71, s[8:9] offset:256       // 000000007DBC: DD388100 00084756
	s_mov_b64 exec, s[36:37]                                   // 000000007DC4: BEFE0124
	s_mov_b64 exec, s[28:29]                                   // 000000007DC8: BEFE011C
	global_atomic_pk_add_f16 v88, v72, s[8:9]                  // 000000007DCC: DD388000 00084858
	s_mov_b64 exec, s[36:37]                                   // 000000007DD4: BEFE0124
	s_mov_b64 exec, s[28:29]                                   // 000000007DD8: BEFE011C
	global_atomic_pk_add_f16 v88, v73, s[8:9] offset:256       // 000000007DDC: DD388100 00084958
	s_mov_b64 exec, s[36:37]                                   // 000000007DE4: BEFE0124
	s_mov_b64 exec, s[30:31]                                   // 000000007DE8: BEFE011E
	global_atomic_pk_add_f16 v90, v74, s[8:9]                  // 000000007DEC: DD388000 00084A5A
	s_mov_b64 exec, s[36:37]                                   // 000000007DF4: BEFE0124
	s_mov_b64 exec, s[30:31]                                   // 000000007DF8: BEFE011E
	global_atomic_pk_add_f16 v90, v75, s[8:9] offset:256       // 000000007DFC: DD388100 00084B5A
	s_mov_b64 exec, s[36:37]                                   // 000000007E04: BEFE0124
	s_mov_b64 exec, s[32:33]                                   // 000000007E08: BEFE0120
	global_atomic_pk_add_f16 v92, v76, s[8:9]                  // 000000007E0C: DD388000 00084C5C
	s_mov_b64 exec, s[36:37]                                   // 000000007E14: BEFE0124
	s_mov_b64 exec, s[32:33]                                   // 000000007E18: BEFE0120
	global_atomic_pk_add_f16 v92, v77, s[8:9] offset:256       // 000000007E1C: DD388100 00084D5C
	s_mov_b64 exec, s[36:37]                                   // 000000007E24: BEFE0124
	s_mov_b64 exec, s[34:35]                                   // 000000007E28: BEFE0122
	global_atomic_pk_add_f16 v94, v78, s[8:9]                  // 000000007E2C: DD388000 00084E5E
	s_mov_b64 exec, s[36:37]                                   // 000000007E34: BEFE0124
	s_mov_b64 exec, s[34:35]                                   // 000000007E38: BEFE0122
	global_atomic_pk_add_f16 v94, v79, s[8:9] offset:256       // 000000007E3C: DD388100 00084F5E
	s_mov_b64 exec, s[36:37]                                   // 000000007E44: BEFE0124
	s_add_u32 s8, s59, s8                                      // 000000007E48: 8008083B
	s_addc_u32 s9, 0, s9                                       // 000000007E4C: 82090980
	s_addk_i32 s80, 0x100                                      // 000000007E50: B7500100
	s_cmp_lt_i32 s80, s81                                      // 000000007E54: BF045150
	s_cbranch_scc0 label_0C90                                  // 000000007E58: BF84F879
	s_waitcnt vmcnt(25)                                        // 000000007E5C: BF8C4F79
	s_barrier                                                  // 000000007E60: BF8A0000
	v_mfma_f32_16x16x32_fp8_fp8 v[184:187], a[48:49], v[128:129], 0// 000000007E64: D3F300B8 0A030130
	buffer_load_dwordx4 a[0:3], v35, s[12:15], 0 offen         // 000000007E6C: E05C1000 80830023
	v_mfma_f32_16x16x32_fp8_fp8 v[184:187], a[50:51], v[130:131], v[184:187]// 000000007E74: D3F300B8 0EE30532
	v_mfma_f32_16x16x32_fp8_fp8 v[188:191], a[48:49], v[140:141], 0// 000000007E7C: D3F300BC 0A031930
	v_mfma_f32_16x16x32_fp8_fp8 v[188:191], a[50:51], v[142:143], v[188:191]// 000000007E84: D3F300BC 0EF31D32
	v_mfma_f32_16x16x32_fp8_fp8 v[192:195], a[52:53], v[128:129], 0// 000000007E8C: D3F300C0 0A030134
	buffer_load_dwordx4 a[4:7], v36, s[12:15], 0 offen         // 000000007E94: E05C1000 80830424
	v_mfma_f32_16x16x32_fp8_fp8 v[192:195], a[54:55], v[130:131], v[192:195]// 000000007E9C: D3F300C0 0F030536
	v_mfma_f32_16x16x32_fp8_fp8 v[196:199], a[52:53], v[140:141], 0// 000000007EA4: D3F300C4 0A031934
	v_mfma_f32_16x16x32_fp8_fp8 v[196:199], a[54:55], v[142:143], v[196:199]// 000000007EAC: D3F300C4 0F131D36
	v_mfma_f32_16x16x32_fp8_fp8 v[200:203], a[56:57], v[128:129], 0// 000000007EB4: D3F300C8 0A030138
	buffer_load_dwordx4 a[8:11], v37, s[12:15], 0 offen        // 000000007EBC: E05C1000 80830825
	v_mfma_f32_16x16x32_fp8_fp8 v[200:203], a[58:59], v[130:131], v[200:203]// 000000007EC4: D3F300C8 0F23053A
	v_mfma_f32_16x16x32_fp8_fp8 v[204:207], a[56:57], v[140:141], 0// 000000007ECC: D3F300CC 0A031938
	v_mfma_f32_16x16x32_fp8_fp8 v[204:207], a[58:59], v[142:143], v[204:207]// 000000007ED4: D3F300CC 0F331D3A
	v_mfma_f32_16x16x32_fp8_fp8 v[208:211], a[60:61], v[128:129], 0// 000000007EDC: D3F300D0 0A03013C
	buffer_load_dwordx4 a[12:15], v38, s[12:15], 0 offen       // 000000007EE4: E05C1000 80830C26
	s_add_u32 s12, s78, s12                                    // 000000007EEC: 800C0C4E
	s_addc_u32 s13, 0, s13                                     // 000000007EF0: 820D0D80
	v_mfma_f32_16x16x32_fp8_fp8 v[208:211], a[62:63], v[130:131], v[208:211]// 000000007EF4: D3F300D0 0F43053E
	v_mfma_f32_16x16x32_fp8_fp8 v[212:215], a[60:61], v[140:141], 0// 000000007EFC: D3F300D4 0A03193C
	v_mfma_f32_16x16x32_fp8_fp8 v[212:215], a[62:63], v[142:143], v[212:215]// 000000007F04: D3F300D4 0F531D3E
	s_waitcnt vmcnt(25)                                        // 000000007F0C: BF8C4F79
	v_mfma_f32_16x16x32_fp8_fp8 v[184:187], a[64:65], v[132:133], v[184:187]// 000000007F10: D3F300B8 0EE30940
	buffer_load_dwordx4 a[16:19], v35, s[12:15], 0 offen       // 000000007F18: E05C1000 80831023
	v_mfma_f32_16x16x32_fp8_fp8 v[184:187], a[66:67], v[134:135], v[184:187]// 000000007F20: D3F300B8 0EE30D42
	v_mfma_f32_16x16x32_fp8_fp8 v[188:191], a[64:65], v[144:145], v[188:191]// 000000007F28: D3F300BC 0EF32140
	v_mfma_f32_16x16x32_fp8_fp8 v[188:191], a[66:67], v[146:147], v[188:191]// 000000007F30: D3F300BC 0EF32542
	v_mfma_f32_16x16x32_fp8_fp8 v[192:195], a[68:69], v[132:133], v[192:195]// 000000007F38: D3F300C0 0F030944
	buffer_load_dwordx4 a[20:23], v36, s[12:15], 0 offen       // 000000007F40: E05C1000 80831424
	v_mfma_f32_16x16x32_fp8_fp8 v[192:195], a[70:71], v[134:135], v[192:195]// 000000007F48: D3F300C0 0F030D46
	v_mfma_f32_16x16x32_fp8_fp8 v[196:199], a[68:69], v[144:145], v[196:199]// 000000007F50: D3F300C4 0F132144
	v_mfma_f32_16x16x32_fp8_fp8 v[196:199], a[70:71], v[146:147], v[196:199]// 000000007F58: D3F300C4 0F132546
	v_mfma_f32_16x16x32_fp8_fp8 v[200:203], a[72:73], v[132:133], v[200:203]// 000000007F60: D3F300C8 0F230948
	buffer_load_dwordx4 a[24:27], v37, s[12:15], 0 offen       // 000000007F68: E05C1000 80831825
	v_mfma_f32_16x16x32_fp8_fp8 v[200:203], a[74:75], v[134:135], v[200:203]// 000000007F70: D3F300C8 0F230D4A
	v_mfma_f32_16x16x32_fp8_fp8 v[204:207], a[72:73], v[144:145], v[204:207]// 000000007F78: D3F300CC 0F332148
	v_mfma_f32_16x16x32_fp8_fp8 v[204:207], a[74:75], v[146:147], v[204:207]// 000000007F80: D3F300CC 0F33254A
	v_mfma_f32_16x16x32_fp8_fp8 v[208:211], a[76:77], v[132:133], v[208:211]// 000000007F88: D3F300D0 0F43094C
	buffer_load_dwordx4 a[28:31], v38, s[12:15], 0 offen       // 000000007F90: E05C1000 80831C26
	s_add_u32 s12, s78, s12                                    // 000000007F98: 800C0C4E
	s_addc_u32 s13, 0, s13                                     // 000000007F9C: 820D0D80
	v_mfma_f32_16x16x32_fp8_fp8 v[208:211], a[78:79], v[134:135], v[208:211]// 000000007FA0: D3F300D0 0F430D4E
	v_mfma_f32_16x16x32_fp8_fp8 v[212:215], a[76:77], v[144:145], v[212:215]// 000000007FA8: D3F300D4 0F53214C
	v_mfma_f32_16x16x32_fp8_fp8 v[212:215], a[78:79], v[146:147], v[212:215]// 000000007FB0: D3F300D4 0F53254E
	s_waitcnt vmcnt(24)                                        // 000000007FB8: BF8C4F78
	v_mfma_f32_16x16x32_fp8_fp8 v[184:187], a[80:81], v[136:137], v[184:187]// 000000007FBC: D3F300B8 0EE31150
	buffer_load_dwordx4 a[32:35], v35, s[12:15], 0 offen       // 000000007FC4: E05C1000 80832023
	v_mfma_f32_16x16x32_fp8_fp8 v[184:187], a[82:83], v[138:139], v[184:187]// 000000007FCC: D3F300B8 0EE31552
	v_mfma_f32_16x16x32_fp8_fp8 v[188:191], a[80:81], v[148:149], v[188:191]// 000000007FD4: D3F300BC 0EF32950
	buffer_load_dword v11, v5, s[16:19], 0 offen               // 000000007FDC: E0501000 80040B05
	v_mfma_f32_16x16x32_fp8_fp8 v[188:191], a[82:83], v[150:151], v[188:191]// 000000007FE4: D3F300BC 0EF32D52
	v_mfma_f32_16x16x32_fp8_fp8 v[192:195], a[84:85], v[136:137], v[192:195]// 000000007FEC: D3F300C0 0F031154
	buffer_load_dwordx4 a[36:39], v36, s[12:15], 0 offen       // 000000007FF4: E05C1000 80832424
	v_mfma_f32_16x16x32_fp8_fp8 v[192:195], a[86:87], v[138:139], v[192:195]// 000000007FFC: D3F300C0 0F031556
	v_mfma_f32_16x16x32_fp8_fp8 v[196:199], a[84:85], v[148:149], v[196:199]// 000000008004: D3F300C4 0F132954
	v_mfma_f32_16x16x32_fp8_fp8 v[196:199], a[86:87], v[150:151], v[196:199]// 00000000800C: D3F300C4 0F132D56
	v_mfma_f32_16x16x32_fp8_fp8 v[200:203], a[88:89], v[136:137], v[200:203]// 000000008014: D3F300C8 0F231158
	buffer_load_dwordx4 a[40:43], v37, s[12:15], 0 offen       // 00000000801C: E05C1000 80832825
	v_mfma_f32_16x16x32_fp8_fp8 v[200:203], a[90:91], v[138:139], v[200:203]// 000000008024: D3F300C8 0F23155A
	v_mfma_f32_16x16x32_fp8_fp8 v[204:207], a[88:89], v[148:149], v[204:207]// 00000000802C: D3F300CC 0F332958
	v_mfma_f32_16x16x32_fp8_fp8 v[204:207], a[90:91], v[150:151], v[204:207]// 000000008034: D3F300CC 0F332D5A
	v_mfma_f32_16x16x32_fp8_fp8 v[208:211], a[92:93], v[136:137], v[208:211]// 00000000803C: D3F300D0 0F43115C
	buffer_load_dwordx4 a[44:47], v38, s[12:15], 0 offen       // 000000008044: E05C1000 80832C26
	v_mfma_f32_16x16x32_fp8_fp8 v[208:211], a[94:95], v[138:139], v[208:211]// 00000000804C: D3F300D0 0F43155E
	v_mfma_f32_16x16x32_fp8_fp8 v[212:215], a[92:93], v[148:149], v[212:215]// 000000008054: D3F300D4 0F53295C
	v_mfma_f32_16x16x32_fp8_fp8 v[212:215], a[94:95], v[150:151], v[212:215]// 00000000805C: D3F300D4 0F532D5E
	s_add_u32 s60, 0x200, s80                                  // 000000008064: 803C50FF 00000200
	s_cmp_lt_u32 s60, s81                                      // 00000000806C: BF0A513C
	s_cselect_b32 s56, s56, 0                                  // 000000008070: 85388038
	s_cselect_b32 s78, s78, 0                                  // 000000008074: 854E804E
	s_cselect_b32 s79, s79, 0                                  // 000000008078: 854F804F
	s_add_u32 s12, s56, s12                                    // 00000000807C: 800C0C38
	s_addc_u32 s13, 0, s13                                     // 000000008080: 820D0D80
	s_add_u32 s16, s79, s16                                    // 000000008084: 8010104F
	s_addc_u32 s17, 0, s17                                     // 000000008088: 82111180
	v_mul_f32_e32 v184, v22, v184                              // 00000000808C: 0B717116
	v_mul_f32_e32 v185, v22, v185                              // 000000008090: 0B737316
	v_mul_f32_e32 v186, v22, v186                              // 000000008094: 0B757516
	v_mul_f32_e32 v187, v22, v187                              // 000000008098: 0B777716
	v_mul_f32_dpp v184, v12, v184 row_newbcast:0 row_mask:0xf bank_mask:0xf// 00000000809C: 0B7170FA FF01500C
	v_mul_f32_dpp v185, v12, v185 row_newbcast:1 row_mask:0xf bank_mask:0xf// 0000000080A4: 0B7372FA FF01510C
	v_mul_f32_dpp v186, v12, v186 row_newbcast:2 row_mask:0xf bank_mask:0xf// 0000000080AC: 0B7574FA FF01520C
	v_mul_f32_dpp v187, v12, v187 row_newbcast:3 row_mask:0xf bank_mask:0xf// 0000000080B4: 0B7776FA FF01530C
	v_mul_f32_e32 v184, v17, v184                              // 0000000080BC: 0B717111
	v_mul_f32_e32 v185, v17, v185                              // 0000000080C0: 0B737311
	v_mul_f32_e32 v186, v17, v186                              // 0000000080C4: 0B757511
	v_mul_f32_e32 v187, v17, v187                              // 0000000080C8: 0B777711
	v_mul_f32_e32 v188, v23, v188                              // 0000000080CC: 0B797917
	v_mul_f32_e32 v189, v23, v189                              // 0000000080D0: 0B7B7B17
	v_mul_f32_e32 v190, v23, v190                              // 0000000080D4: 0B7D7D17
	v_mul_f32_e32 v191, v23, v191                              // 0000000080D8: 0B7F7F17
	v_mul_f32_dpp v188, v12, v188 row_newbcast:0 row_mask:0xf bank_mask:0xf// 0000000080DC: 0B7978FA FF01500C
	v_mul_f32_dpp v189, v12, v189 row_newbcast:1 row_mask:0xf bank_mask:0xf// 0000000080E4: 0B7B7AFA FF01510C
	v_mul_f32_dpp v190, v12, v190 row_newbcast:2 row_mask:0xf bank_mask:0xf// 0000000080EC: 0B7D7CFA FF01520C
	v_mul_f32_dpp v191, v12, v191 row_newbcast:3 row_mask:0xf bank_mask:0xf// 0000000080F4: 0B7F7EFA FF01530C
	v_mul_f32_e32 v188, v18, v188                              // 0000000080FC: 0B797912
	v_mul_f32_e32 v189, v18, v189                              // 000000008100: 0B7B7B12
	v_mul_f32_e32 v190, v18, v190                              // 000000008104: 0B7D7D12
	v_mul_f32_e32 v191, v18, v191                              // 000000008108: 0B7F7F12
	v_mul_f32_e32 v192, v22, v192                              // 00000000810C: 0B818116
	v_mul_f32_e32 v193, v22, v193                              // 000000008110: 0B838316
	v_mul_f32_e32 v194, v22, v194                              // 000000008114: 0B858516
	v_mul_f32_e32 v195, v22, v195                              // 000000008118: 0B878716
	v_mul_f32_dpp v192, v12, v192 row_newbcast:4 row_mask:0xf bank_mask:0xf// 00000000811C: 0B8180FA FF01540C
	v_mul_f32_dpp v193, v12, v193 row_newbcast:5 row_mask:0xf bank_mask:0xf// 000000008124: 0B8382FA FF01550C
	v_mul_f32_dpp v194, v12, v194 row_newbcast:6 row_mask:0xf bank_mask:0xf// 00000000812C: 0B8584FA FF01560C
	v_mul_f32_dpp v195, v12, v195 row_newbcast:7 row_mask:0xf bank_mask:0xf// 000000008134: 0B8786FA FF01570C
	v_mul_f32_e32 v192, v17, v192                              // 00000000813C: 0B818111
	v_mul_f32_e32 v193, v17, v193                              // 000000008140: 0B838311
	v_mul_f32_e32 v194, v17, v194                              // 000000008144: 0B858511
	v_mul_f32_e32 v195, v17, v195                              // 000000008148: 0B878711
	v_mul_f32_e32 v196, v23, v196                              // 00000000814C: 0B898917
	v_mul_f32_e32 v197, v23, v197                              // 000000008150: 0B8B8B17
	v_mul_f32_e32 v198, v23, v198                              // 000000008154: 0B8D8D17
	v_mul_f32_e32 v199, v23, v199                              // 000000008158: 0B8F8F17
	v_mul_f32_dpp v196, v12, v196 row_newbcast:4 row_mask:0xf bank_mask:0xf// 00000000815C: 0B8988FA FF01540C
	v_mul_f32_dpp v197, v12, v197 row_newbcast:5 row_mask:0xf bank_mask:0xf// 000000008164: 0B8B8AFA FF01550C
	v_mul_f32_dpp v198, v12, v198 row_newbcast:6 row_mask:0xf bank_mask:0xf// 00000000816C: 0B8D8CFA FF01560C
	v_mul_f32_dpp v199, v12, v199 row_newbcast:7 row_mask:0xf bank_mask:0xf// 000000008174: 0B8F8EFA FF01570C
	v_mul_f32_e32 v196, v18, v196                              // 00000000817C: 0B898912
	v_mul_f32_e32 v197, v18, v197                              // 000000008180: 0B8B8B12
	v_mul_f32_e32 v198, v18, v198                              // 000000008184: 0B8D8D12
	v_mul_f32_e32 v199, v18, v199                              // 000000008188: 0B8F8F12
	v_mul_f32_e32 v200, v22, v200                              // 00000000818C: 0B919116
	v_mul_f32_e32 v201, v22, v201                              // 000000008190: 0B939316
	v_mul_f32_e32 v202, v22, v202                              // 000000008194: 0B959516
	v_mul_f32_e32 v203, v22, v203                              // 000000008198: 0B979716
	v_mul_f32_dpp v200, v12, v200 row_newbcast:8 row_mask:0xf bank_mask:0xf// 00000000819C: 0B9190FA FF01580C
	v_mul_f32_dpp v201, v12, v201 row_newbcast:9 row_mask:0xf bank_mask:0xf// 0000000081A4: 0B9392FA FF01590C
	v_mul_f32_dpp v202, v12, v202 row_newbcast:10 row_mask:0xf bank_mask:0xf// 0000000081AC: 0B9594FA FF015A0C
	v_mul_f32_dpp v203, v12, v203 row_newbcast:11 row_mask:0xf bank_mask:0xf// 0000000081B4: 0B9796FA FF015B0C
	v_mul_f32_e32 v200, v17, v200                              // 0000000081BC: 0B919111
	v_mul_f32_e32 v201, v17, v201                              // 0000000081C0: 0B939311
	v_mul_f32_e32 v202, v17, v202                              // 0000000081C4: 0B959511
	v_mul_f32_e32 v203, v17, v203                              // 0000000081C8: 0B979711
	v_mul_f32_e32 v204, v23, v204                              // 0000000081CC: 0B999917
	v_mul_f32_e32 v205, v23, v205                              // 0000000081D0: 0B9B9B17
	v_mul_f32_e32 v206, v23, v206                              // 0000000081D4: 0B9D9D17
	v_mul_f32_e32 v207, v23, v207                              // 0000000081D8: 0B9F9F17
	v_mul_f32_dpp v204, v12, v204 row_newbcast:8 row_mask:0xf bank_mask:0xf// 0000000081DC: 0B9998FA FF01580C
	v_mul_f32_dpp v205, v12, v205 row_newbcast:9 row_mask:0xf bank_mask:0xf// 0000000081E4: 0B9B9AFA FF01590C
	v_mul_f32_dpp v206, v12, v206 row_newbcast:10 row_mask:0xf bank_mask:0xf// 0000000081EC: 0B9D9CFA FF015A0C
	v_mul_f32_dpp v207, v12, v207 row_newbcast:11 row_mask:0xf bank_mask:0xf// 0000000081F4: 0B9F9EFA FF015B0C
	v_mul_f32_e32 v204, v18, v204                              // 0000000081FC: 0B999912
	v_mul_f32_e32 v205, v18, v205                              // 000000008200: 0B9B9B12
	v_mul_f32_e32 v206, v18, v206                              // 000000008204: 0B9D9D12
	v_mul_f32_e32 v207, v18, v207                              // 000000008208: 0B9F9F12
	v_mul_f32_e32 v208, v22, v208                              // 00000000820C: 0BA1A116
	v_mul_f32_e32 v209, v22, v209                              // 000000008210: 0BA3A316
	v_mul_f32_e32 v210, v22, v210                              // 000000008214: 0BA5A516
	v_mul_f32_e32 v211, v22, v211                              // 000000008218: 0BA7A716
	v_mul_f32_dpp v208, v12, v208 row_newbcast:12 row_mask:0xf bank_mask:0xf// 00000000821C: 0BA1A0FA FF015C0C
	v_mul_f32_dpp v209, v12, v209 row_newbcast:13 row_mask:0xf bank_mask:0xf// 000000008224: 0BA3A2FA FF015D0C
	v_mul_f32_dpp v210, v12, v210 row_newbcast:14 row_mask:0xf bank_mask:0xf// 00000000822C: 0BA5A4FA FF015E0C
	v_mul_f32_dpp v211, v12, v211 row_newbcast:15 row_mask:0xf bank_mask:0xf// 000000008234: 0BA7A6FA FF015F0C
	v_mul_f32_e32 v208, v17, v208                              // 00000000823C: 0BA1A111
	v_mul_f32_e32 v209, v17, v209                              // 000000008240: 0BA3A311
	v_mul_f32_e32 v210, v17, v210                              // 000000008244: 0BA5A511
	v_mul_f32_e32 v211, v17, v211                              // 000000008248: 0BA7A711
	v_mul_f32_e32 v212, v23, v212                              // 00000000824C: 0BA9A917
	v_mul_f32_e32 v213, v23, v213                              // 000000008250: 0BABAB17
	v_mul_f32_e32 v214, v23, v214                              // 000000008254: 0BADAD17
	v_mul_f32_e32 v215, v23, v215                              // 000000008258: 0BAFAF17
	v_mul_f32_dpp v212, v12, v212 row_newbcast:12 row_mask:0xf bank_mask:0xf// 00000000825C: 0BA9A8FA FF015C0C
	v_mul_f32_dpp v213, v12, v213 row_newbcast:13 row_mask:0xf bank_mask:0xf// 000000008264: 0BABAAFA FF015D0C
	v_mul_f32_dpp v214, v12, v214 row_newbcast:14 row_mask:0xf bank_mask:0xf// 00000000826C: 0BADACFA FF015E0C
	v_mul_f32_dpp v215, v12, v215 row_newbcast:15 row_mask:0xf bank_mask:0xf// 000000008274: 0BAFAEFA FF015F0C
	v_mul_f32_e32 v212, v18, v212                              // 00000000827C: 0BA9A912
	v_mul_f32_e32 v213, v18, v213                              // 000000008280: 0BABAB12
	v_mul_f32_e32 v214, v18, v214                              // 000000008284: 0BADAD12
	v_mul_f32_e32 v215, v18, v215                              // 000000008288: 0BAFAF12
	v_cmp_u_f32_e64 s[48:49], v184, v184                       // 00000000828C: D0480030 000371B8
	v_add3_u32 v39, v184, v42, 1                               // 000000008294: D1FF0027 020655B8
	v_cndmask_b32_e64 v44, v39, v41, s[48:49]                  // 00000000829C: D100002C 00C25327
	v_cmp_u_f32_e64 s[48:49], v185, v185                       // 0000000082A4: D0480030 000373B9
	v_add3_u32 v39, v185, v42, 1                               // 0000000082AC: D1FF0027 020655B9
	v_cndmask_b32_e64 v45, v39, v41, s[48:49]                  // 0000000082B4: D100002D 00C25327
	v_perm_b32 v184, v45, v44, s52                             // 0000000082BC: D1ED00B8 00D2592D
	v_cmp_u_f32_e64 s[48:49], v186, v186                       // 0000000082C4: D0480030 000375BA
	v_add3_u32 v39, v186, v42, 1                               // 0000000082CC: D1FF0027 020655BA
	v_cndmask_b32_e64 v44, v39, v41, s[48:49]                  // 0000000082D4: D100002C 00C25327
	v_cmp_u_f32_e64 s[48:49], v187, v187                       // 0000000082DC: D0480030 000377BB
	v_add3_u32 v39, v187, v42, 1                               // 0000000082E4: D1FF0027 020655BB
	v_cndmask_b32_e64 v45, v39, v41, s[48:49]                  // 0000000082EC: D100002D 00C25327
	v_perm_b32 v185, v45, v44, s52                             // 0000000082F4: D1ED00B9 00D2592D
	v_cmp_u_f32_e64 s[48:49], v188, v188                       // 0000000082FC: D0480030 000379BC
	v_add3_u32 v39, v188, v42, 1                               // 000000008304: D1FF0027 020655BC
	v_cndmask_b32_e64 v44, v39, v41, s[48:49]                  // 00000000830C: D100002C 00C25327
	v_cmp_u_f32_e64 s[48:49], v189, v189                       // 000000008314: D0480030 00037BBD
	v_add3_u32 v39, v189, v42, 1                               // 00000000831C: D1FF0027 020655BD
	v_cndmask_b32_e64 v45, v39, v41, s[48:49]                  // 000000008324: D100002D 00C25327
	v_perm_b32 v186, v45, v44, s52                             // 00000000832C: D1ED00BA 00D2592D
	v_cmp_u_f32_e64 s[48:49], v190, v190                       // 000000008334: D0480030 00037DBE
	v_add3_u32 v39, v190, v42, 1                               // 00000000833C: D1FF0027 020655BE
	v_cndmask_b32_e64 v44, v39, v41, s[48:49]                  // 000000008344: D100002C 00C25327
	v_cmp_u_f32_e64 s[48:49], v191, v191                       // 00000000834C: D0480030 00037FBF
	v_add3_u32 v39, v191, v42, 1                               // 000000008354: D1FF0027 020655BF
	v_cndmask_b32_e64 v45, v39, v41, s[48:49]                  // 00000000835C: D100002D 00C25327
	v_perm_b32 v187, v45, v44, s52                             // 000000008364: D1ED00BB 00D2592D
	v_cmp_u_f32_e64 s[48:49], v192, v192                       // 00000000836C: D0480030 000381C0
	v_add3_u32 v39, v192, v42, 1                               // 000000008374: D1FF0027 020655C0
	v_cndmask_b32_e64 v44, v39, v41, s[48:49]                  // 00000000837C: D100002C 00C25327
	v_cmp_u_f32_e64 s[48:49], v193, v193                       // 000000008384: D0480030 000383C1
	v_add3_u32 v39, v193, v42, 1                               // 00000000838C: D1FF0027 020655C1
	v_cndmask_b32_e64 v45, v39, v41, s[48:49]                  // 000000008394: D100002D 00C25327
	v_perm_b32 v188, v45, v44, s52                             // 00000000839C: D1ED00BC 00D2592D
	v_cmp_u_f32_e64 s[48:49], v194, v194                       // 0000000083A4: D0480030 000385C2
	v_add3_u32 v39, v194, v42, 1                               // 0000000083AC: D1FF0027 020655C2
	v_cndmask_b32_e64 v44, v39, v41, s[48:49]                  // 0000000083B4: D100002C 00C25327
	v_cmp_u_f32_e64 s[48:49], v195, v195                       // 0000000083BC: D0480030 000387C3
	v_add3_u32 v39, v195, v42, 1                               // 0000000083C4: D1FF0027 020655C3
	v_cndmask_b32_e64 v45, v39, v41, s[48:49]                  // 0000000083CC: D100002D 00C25327
	v_perm_b32 v189, v45, v44, s52                             // 0000000083D4: D1ED00BD 00D2592D
	v_cmp_u_f32_e64 s[48:49], v196, v196                       // 0000000083DC: D0480030 000389C4
	v_add3_u32 v39, v196, v42, 1                               // 0000000083E4: D1FF0027 020655C4
	v_cndmask_b32_e64 v44, v39, v41, s[48:49]                  // 0000000083EC: D100002C 00C25327
	v_cmp_u_f32_e64 s[48:49], v197, v197                       // 0000000083F4: D0480030 00038BC5
	v_add3_u32 v39, v197, v42, 1                               // 0000000083FC: D1FF0027 020655C5
	v_cndmask_b32_e64 v45, v39, v41, s[48:49]                  // 000000008404: D100002D 00C25327
	v_perm_b32 v190, v45, v44, s52                             // 00000000840C: D1ED00BE 00D2592D
	v_cmp_u_f32_e64 s[48:49], v198, v198                       // 000000008414: D0480030 00038DC6
	v_add3_u32 v39, v198, v42, 1                               // 00000000841C: D1FF0027 020655C6
	v_cndmask_b32_e64 v44, v39, v41, s[48:49]                  // 000000008424: D100002C 00C25327
	v_cmp_u_f32_e64 s[48:49], v199, v199                       // 00000000842C: D0480030 00038FC7
	v_add3_u32 v39, v199, v42, 1                               // 000000008434: D1FF0027 020655C7
	v_cndmask_b32_e64 v45, v39, v41, s[48:49]                  // 00000000843C: D100002D 00C25327
	v_perm_b32 v191, v45, v44, s52                             // 000000008444: D1ED00BF 00D2592D
	v_cmp_u_f32_e64 s[48:49], v200, v200                       // 00000000844C: D0480030 000391C8
	v_add3_u32 v39, v200, v42, 1                               // 000000008454: D1FF0027 020655C8
	v_cndmask_b32_e64 v44, v39, v41, s[48:49]                  // 00000000845C: D100002C 00C25327
	v_cmp_u_f32_e64 s[48:49], v201, v201                       // 000000008464: D0480030 000393C9
	v_add3_u32 v39, v201, v42, 1                               // 00000000846C: D1FF0027 020655C9
	v_cndmask_b32_e64 v45, v39, v41, s[48:49]                  // 000000008474: D100002D 00C25327
	v_perm_b32 v192, v45, v44, s52                             // 00000000847C: D1ED00C0 00D2592D
	v_cmp_u_f32_e64 s[48:49], v202, v202                       // 000000008484: D0480030 000395CA
	v_add3_u32 v39, v202, v42, 1                               // 00000000848C: D1FF0027 020655CA
	v_cndmask_b32_e64 v44, v39, v41, s[48:49]                  // 000000008494: D100002C 00C25327
	v_cmp_u_f32_e64 s[48:49], v203, v203                       // 00000000849C: D0480030 000397CB
	v_add3_u32 v39, v203, v42, 1                               // 0000000084A4: D1FF0027 020655CB
	v_cndmask_b32_e64 v45, v39, v41, s[48:49]                  // 0000000084AC: D100002D 00C25327
	v_perm_b32 v193, v45, v44, s52                             // 0000000084B4: D1ED00C1 00D2592D
	v_cmp_u_f32_e64 s[48:49], v204, v204                       // 0000000084BC: D0480030 000399CC
	v_add3_u32 v39, v204, v42, 1                               // 0000000084C4: D1FF0027 020655CC
	v_cndmask_b32_e64 v44, v39, v41, s[48:49]                  // 0000000084CC: D100002C 00C25327
	v_cmp_u_f32_e64 s[48:49], v205, v205                       // 0000000084D4: D0480030 00039BCD
	v_add3_u32 v39, v205, v42, 1                               // 0000000084DC: D1FF0027 020655CD
	v_cndmask_b32_e64 v45, v39, v41, s[48:49]                  // 0000000084E4: D100002D 00C25327
	v_perm_b32 v194, v45, v44, s52                             // 0000000084EC: D1ED00C2 00D2592D
	v_cmp_u_f32_e64 s[48:49], v206, v206                       // 0000000084F4: D0480030 00039DCE
	v_add3_u32 v39, v206, v42, 1                               // 0000000084FC: D1FF0027 020655CE
	v_cndmask_b32_e64 v44, v39, v41, s[48:49]                  // 000000008504: D100002C 00C25327
	v_cmp_u_f32_e64 s[48:49], v207, v207                       // 00000000850C: D0480030 00039FCF
	v_add3_u32 v39, v207, v42, 1                               // 000000008514: D1FF0027 020655CF
	v_cndmask_b32_e64 v45, v39, v41, s[48:49]                  // 00000000851C: D100002D 00C25327
	v_perm_b32 v195, v45, v44, s52                             // 000000008524: D1ED00C3 00D2592D
	v_cmp_u_f32_e64 s[48:49], v208, v208                       // 00000000852C: D0480030 0003A1D0
	v_add3_u32 v39, v208, v42, 1                               // 000000008534: D1FF0027 020655D0
	v_cndmask_b32_e64 v44, v39, v41, s[48:49]                  // 00000000853C: D100002C 00C25327
	v_cmp_u_f32_e64 s[48:49], v209, v209                       // 000000008544: D0480030 0003A3D1
	v_add3_u32 v39, v209, v42, 1                               // 00000000854C: D1FF0027 020655D1
	v_cndmask_b32_e64 v45, v39, v41, s[48:49]                  // 000000008554: D100002D 00C25327
	v_perm_b32 v196, v45, v44, s52                             // 00000000855C: D1ED00C4 00D2592D
	v_cmp_u_f32_e64 s[48:49], v210, v210                       // 000000008564: D0480030 0003A5D2
	v_add3_u32 v39, v210, v42, 1                               // 00000000856C: D1FF0027 020655D2
	v_cndmask_b32_e64 v44, v39, v41, s[48:49]                  // 000000008574: D100002C 00C25327
	v_cmp_u_f32_e64 s[48:49], v211, v211                       // 00000000857C: D0480030 0003A7D3
	v_add3_u32 v39, v211, v42, 1                               // 000000008584: D1FF0027 020655D3
	v_cndmask_b32_e64 v45, v39, v41, s[48:49]                  // 00000000858C: D100002D 00C25327
	v_perm_b32 v197, v45, v44, s52                             // 000000008594: D1ED00C5 00D2592D
	v_cmp_u_f32_e64 s[48:49], v212, v212                       // 00000000859C: D0480030 0003A9D4
	v_add3_u32 v39, v212, v42, 1                               // 0000000085A4: D1FF0027 020655D4
	v_cndmask_b32_e64 v44, v39, v41, s[48:49]                  // 0000000085AC: D100002C 00C25327
	v_cmp_u_f32_e64 s[48:49], v213, v213                       // 0000000085B4: D0480030 0003ABD5
	v_add3_u32 v39, v213, v42, 1                               // 0000000085BC: D1FF0027 020655D5
	v_cndmask_b32_e64 v45, v39, v41, s[48:49]                  // 0000000085C4: D100002D 00C25327
	v_perm_b32 v198, v45, v44, s52                             // 0000000085CC: D1ED00C6 00D2592D
	v_cmp_u_f32_e64 s[48:49], v214, v214                       // 0000000085D4: D0480030 0003ADD6
	v_add3_u32 v39, v214, v42, 1                               // 0000000085DC: D1FF0027 020655D6
	v_cndmask_b32_e64 v44, v39, v41, s[48:49]                  // 0000000085E4: D100002C 00C25327
	v_cmp_u_f32_e64 s[48:49], v215, v215                       // 0000000085EC: D0480030 0003AFD7
	v_add3_u32 v39, v215, v42, 1                               // 0000000085F4: D1FF0027 020655D7
	v_cndmask_b32_e64 v45, v39, v41, s[48:49]                  // 0000000085FC: D100002D 00C25327
	v_perm_b32 v199, v45, v44, s52                             // 000000008604: D1ED00C7 00D2592D
	ds_write_b64 v3, v[184:185] offset:24832                   // 00000000860C: D89A6100 0000B803
	ds_write_b64 v3, v[186:187] offset:33536                   // 000000008614: D89A8300 0000BA03
	ds_write_b64 v3, v[188:189] offset:27008                   // 00000000861C: D89A6980 0000BC03
	ds_write_b64 v3, v[190:191] offset:35712                   // 000000008624: D89A8B80 0000BE03
	ds_write_b64 v3, v[192:193] offset:29184                   // 00000000862C: D89A7200 0000C003
	ds_write_b64 v3, v[194:195] offset:37888                   // 000000008634: D89A9400 0000C203
	ds_write_b64 v3, v[196:197] offset:31360                   // 00000000863C: D89A7A80 0000C403
	ds_write_b64 v3, v[198:199] offset:40064                   // 000000008644: D89A9C80 0000C603
	s_waitcnt lgkmcnt(0)                                       // 00000000864C: BF8CC07F
	s_barrier                                                  // 000000008650: BF8A0000
	ds_read_b32 v64, v4 offset:24832                           // 000000008654: D86C6100 40000004
	ds_read_b32 v65, v4 offset:29184                           // 00000000865C: D86C7200 41000004
	ds_read_b32 v66, v4 offset:24864                           // 000000008664: D86C6120 42000004
	ds_read_b32 v67, v4 offset:29216                           // 00000000866C: D86C7220 43000004
	ds_read_b32 v68, v4 offset:24896                           // 000000008674: D86C6140 44000004
	ds_read_b32 v69, v4 offset:29248                           // 00000000867C: D86C7240 45000004
	ds_read_b32 v70, v4 offset:24928                           // 000000008684: D86C6160 46000004
	ds_read_b32 v71, v4 offset:29280                           // 00000000868C: D86C7260 47000004
	ds_read_b32 v72, v4 offset:33536                           // 000000008694: D86C8300 48000004
	ds_read_b32 v73, v4 offset:37888                           // 00000000869C: D86C9400 49000004
	ds_read_b32 v74, v4 offset:33568                           // 0000000086A4: D86C8320 4A000004
	ds_read_b32 v75, v4 offset:37920                           // 0000000086AC: D86C9420 4B000004
	ds_read_b32 v76, v4 offset:33600                           // 0000000086B4: D86C8340 4C000004
	ds_read_b32 v77, v4 offset:37952                           // 0000000086BC: D86C9440 4D000004
	ds_read_b32 v78, v4 offset:33632                           // 0000000086C4: D86C8360 4E000004
	ds_read_b32 v79, v4 offset:37984                           // 0000000086CC: D86C9460 4F000004
	s_waitcnt lgkmcnt(0)                                       // 0000000086D4: BF8CC07F
	s_mov_b64 exec, s[20:21]                                   // 0000000086D8: BEFE0114
	global_atomic_pk_add_f16 v80, v64, s[8:9]                  // 0000000086DC: DD388000 00084050
	s_mov_b64 exec, s[36:37]                                   // 0000000086E4: BEFE0124
	s_mov_b64 exec, s[20:21]                                   // 0000000086E8: BEFE0114
	global_atomic_pk_add_f16 v80, v65, s[8:9] offset:256       // 0000000086EC: DD388100 00084150
	s_mov_b64 exec, s[36:37]                                   // 0000000086F4: BEFE0124
	s_mov_b64 exec, s[22:23]                                   // 0000000086F8: BEFE0116
	global_atomic_pk_add_f16 v82, v66, s[8:9]                  // 0000000086FC: DD388000 00084252
	s_mov_b64 exec, s[36:37]                                   // 000000008704: BEFE0124
	s_mov_b64 exec, s[22:23]                                   // 000000008708: BEFE0116
	global_atomic_pk_add_f16 v82, v67, s[8:9] offset:256       // 00000000870C: DD388100 00084352
	s_mov_b64 exec, s[36:37]                                   // 000000008714: BEFE0124
	s_mov_b64 exec, s[24:25]                                   // 000000008718: BEFE0118
	global_atomic_pk_add_f16 v84, v68, s[8:9]                  // 00000000871C: DD388000 00084454
	s_mov_b64 exec, s[36:37]                                   // 000000008724: BEFE0124
	s_mov_b64 exec, s[24:25]                                   // 000000008728: BEFE0118
	global_atomic_pk_add_f16 v84, v69, s[8:9] offset:256       // 00000000872C: DD388100 00084554
	s_mov_b64 exec, s[36:37]                                   // 000000008734: BEFE0124
	s_mov_b64 exec, s[26:27]                                   // 000000008738: BEFE011A
	global_atomic_pk_add_f16 v86, v70, s[8:9]                  // 00000000873C: DD388000 00084656
	s_mov_b64 exec, s[36:37]                                   // 000000008744: BEFE0124
	s_mov_b64 exec, s[26:27]                                   // 000000008748: BEFE011A
	global_atomic_pk_add_f16 v86, v71, s[8:9] offset:256       // 00000000874C: DD388100 00084756
	s_mov_b64 exec, s[36:37]                                   // 000000008754: BEFE0124
	s_mov_b64 exec, s[28:29]                                   // 000000008758: BEFE011C
	global_atomic_pk_add_f16 v88, v72, s[8:9]                  // 00000000875C: DD388000 00084858
	s_mov_b64 exec, s[36:37]                                   // 000000008764: BEFE0124
	s_mov_b64 exec, s[28:29]                                   // 000000008768: BEFE011C
	global_atomic_pk_add_f16 v88, v73, s[8:9] offset:256       // 00000000876C: DD388100 00084958
	s_mov_b64 exec, s[36:37]                                   // 000000008774: BEFE0124
	s_mov_b64 exec, s[30:31]                                   // 000000008778: BEFE011E
	global_atomic_pk_add_f16 v90, v74, s[8:9]                  // 00000000877C: DD388000 00084A5A
	s_mov_b64 exec, s[36:37]                                   // 000000008784: BEFE0124
	s_mov_b64 exec, s[30:31]                                   // 000000008788: BEFE011E
	global_atomic_pk_add_f16 v90, v75, s[8:9] offset:256       // 00000000878C: DD388100 00084B5A
	s_mov_b64 exec, s[36:37]                                   // 000000008794: BEFE0124
	s_mov_b64 exec, s[32:33]                                   // 000000008798: BEFE0120
	global_atomic_pk_add_f16 v92, v76, s[8:9]                  // 00000000879C: DD388000 00084C5C
	s_mov_b64 exec, s[36:37]                                   // 0000000087A4: BEFE0124
	s_mov_b64 exec, s[32:33]                                   // 0000000087A8: BEFE0120
	global_atomic_pk_add_f16 v92, v77, s[8:9] offset:256       // 0000000087AC: DD388100 00084D5C
	s_mov_b64 exec, s[36:37]                                   // 0000000087B4: BEFE0124
	s_mov_b64 exec, s[34:35]                                   // 0000000087B8: BEFE0122
	global_atomic_pk_add_f16 v94, v78, s[8:9]                  // 0000000087BC: DD388000 00084E5E
	s_mov_b64 exec, s[36:37]                                   // 0000000087C4: BEFE0124
	s_mov_b64 exec, s[34:35]                                   // 0000000087C8: BEFE0122
	global_atomic_pk_add_f16 v94, v79, s[8:9] offset:256       // 0000000087CC: DD388100 00084F5E
	s_mov_b64 exec, s[36:37]                                   // 0000000087D4: BEFE0124
	s_add_u32 s8, s59, s8                                      // 0000000087D8: 8008083B
	s_addc_u32 s9, 0, s9                                       // 0000000087DC: 82090980
	s_addk_i32 s80, 0x100                                      // 0000000087E0: B7500100
	s_cmp_lt_i32 s80, s81                                      // 0000000087E4: BF045150
	s_cbranch_scc0 label_0C90                                  // 0000000087E8: BF84F615
	s_branch label_11B3                                        // 0000000087EC: BF82FB37

00000000000087f0 <label_167C>:
	s_waitcnt vmcnt(0) expcnt(0) lgkmcnt(0)                    // 0000000087F0: BF8C0000
	s_add_u32 s100, s100, 1                                    // 0000000087F4: 80648164
	s_cmp_eq_u32 s96, 0                                        // 0000000087F8: BF068060
	s_cbranch_scc0 label_0039                                  // 0000000087FC: BF84E9B9

0000000000008800 <label_1680>:
	s_waitcnt vmcnt(0) expcnt(0) lgkmcnt(0)                    // 000000008800: BF8C0000
	s_endpgm                                                   // 000000008804: BF810000
